;; amdgpu-corpus repo=ROCm/rocFFT kind=compiled arch=gfx906 opt=O3
	.text
	.amdgcn_target "amdgcn-amd-amdhsa--gfx906"
	.amdhsa_code_object_version 6
	.protected	bluestein_single_fwd_len1232_dim1_half_op_CI_CI ; -- Begin function bluestein_single_fwd_len1232_dim1_half_op_CI_CI
	.globl	bluestein_single_fwd_len1232_dim1_half_op_CI_CI
	.p2align	8
	.type	bluestein_single_fwd_len1232_dim1_half_op_CI_CI,@function
bluestein_single_fwd_len1232_dim1_half_op_CI_CI: ; @bluestein_single_fwd_len1232_dim1_half_op_CI_CI
; %bb.0:
	s_load_dwordx4 s[12:15], s[4:5], 0x28
	v_mul_u32_u24_e32 v1, 0x175, v0
	v_add_u32_sdwa v14, s6, v1 dst_sel:DWORD dst_unused:UNUSED_PAD src0_sel:DWORD src1_sel:WORD_1
	v_mov_b32_e32 v15, 0
	s_waitcnt lgkmcnt(0)
	v_cmp_gt_u64_e32 vcc, s[12:13], v[14:15]
	s_and_saveexec_b64 s[0:1], vcc
	s_cbranch_execz .LBB0_47
; %bb.1:
	s_load_dwordx4 s[0:3], s[4:5], 0x18
	s_load_dwordx2 s[16:17], s[4:5], 0x0
	s_load_dwordx2 s[12:13], s[4:5], 0x38
	s_waitcnt lgkmcnt(0)
	v_mov_b32_e32 v8, s17
	s_load_dwordx4 s[8:11], s[0:1], 0x0
	s_movk_i32 s0, 0xb0
	v_mul_lo_u16_sdwa v1, v1, s0 dst_sel:DWORD dst_unused:UNUSED_PAD src0_sel:WORD_1 src1_sel:DWORD
	v_sub_u16_e32 v34, v0, v1
	v_lshlrev_b32_e32 v29, 2, v34
	s_waitcnt lgkmcnt(0)
	v_mad_u64_u32 v[0:1], s[0:1], s10, v14, 0
	v_mad_u64_u32 v[2:3], s[0:1], s8, v34, 0
	s_mul_hi_u32 s7, s8, 0x268
	s_mul_hi_u32 s10, s8, 0xfffffe48
	v_mad_u64_u32 v[4:5], s[0:1], s11, v14, v[1:2]
	s_mul_i32 s6, s8, 0xfffffe48
	v_mad_u64_u32 v[5:6], s[0:1], s9, v34, v[3:4]
	v_mov_b32_e32 v1, v4
	v_lshlrev_b64 v[0:1], 2, v[0:1]
	v_mov_b32_e32 v6, s15
	v_mov_b32_e32 v3, v5
	v_add_co_u32_e32 v4, vcc, s14, v0
	v_addc_co_u32_e32 v5, vcc, v6, v1, vcc
	v_lshlrev_b64 v[0:1], 2, v[2:3]
	s_mul_i32 s1, s9, 0x268
	v_add_co_u32_e32 v0, vcc, v4, v0
	s_mul_i32 s0, s8, 0x268
	s_add_i32 s1, s7, s1
	v_addc_co_u32_e32 v1, vcc, v5, v1, vcc
	s_mulk_i32 s9, 0xfe48
	s_sub_i32 s7, s10, s8
	s_lshl_b64 s[14:15], s[0:1], 2
	global_load_dword v2, v[0:1], off
	s_add_i32 s7, s7, s9
	v_mov_b32_e32 v3, s15
	v_add_co_u32_e32 v0, vcc, s14, v0
	s_lshl_b64 s[18:19], s[6:7], 2
	v_addc_co_u32_e32 v1, vcc, v1, v3, vcc
	global_load_dword v36, v29, s[16:17]
	global_load_dword v30, v29, s[16:17] offset:3872
	v_mov_b32_e32 v4, s19
	global_load_dword v5, v[0:1], off
	global_load_dword v35, v29, s[16:17] offset:2464
	v_add_co_u32_e32 v0, vcc, s18, v0
	v_addc_co_u32_e32 v1, vcc, v1, v4, vcc
	global_load_dword v6, v[0:1], off
	global_load_dword v33, v29, s[16:17] offset:704
	v_add_co_u32_e32 v0, vcc, s14, v0
	v_addc_co_u32_e32 v1, vcc, v1, v3, vcc
	;; [unrolled: 4-line block ×4, first 2 shown]
	global_load_dword v3, v[0:1], off
	v_add_co_u32_e64 v12, s[6:7], s16, v29
	v_addc_co_u32_e64 v13, vcc, 0, v8, s[6:7]
	s_load_dwordx4 s[8:11], s[2:3], 0x0
	s_movk_i32 s0, 0x58
	v_cmp_gt_u16_e64 s[0:1], s0, v34
	s_waitcnt vmcnt(11)
	v_lshrrev_b32_e32 v8, 16, v2
	s_waitcnt vmcnt(10)
	v_mul_f16_sdwa v9, v36, v2 dst_sel:DWORD dst_unused:UNUSED_PAD src0_sel:WORD_1 src1_sel:DWORD
	v_fma_f16 v9, v36, v8, -v9
	v_mul_f16_sdwa v8, v36, v8 dst_sel:DWORD dst_unused:UNUSED_PAD src0_sel:WORD_1 src1_sel:DWORD
	s_waitcnt vmcnt(8)
	v_lshrrev_b32_e32 v10, 16, v5
	s_waitcnt vmcnt(7)
	v_mul_f16_sdwa v11, v35, v5 dst_sel:DWORD dst_unused:UNUSED_PAD src0_sel:WORD_1 src1_sel:DWORD
	v_fma_f16 v2, v36, v2, v8
	v_fma_f16 v8, v35, v10, -v11
	v_mul_f16_sdwa v10, v35, v10 dst_sel:DWORD dst_unused:UNUSED_PAD src0_sel:WORD_1 src1_sel:DWORD
	s_waitcnt vmcnt(6)
	v_lshrrev_b32_e32 v11, 16, v6
	s_waitcnt vmcnt(5)
	v_mul_f16_sdwa v15, v33, v6 dst_sel:DWORD dst_unused:UNUSED_PAD src0_sel:WORD_1 src1_sel:DWORD
	v_pack_b32_f16 v2, v2, v9
	v_fma_f16 v5, v35, v5, v10
	v_fma_f16 v9, v33, v11, -v15
	v_mul_f16_sdwa v10, v33, v11 dst_sel:DWORD dst_unused:UNUSED_PAD src0_sel:WORD_1 src1_sel:DWORD
	s_waitcnt vmcnt(4)
	v_lshrrev_b32_e32 v11, 16, v7
	s_waitcnt vmcnt(3)
	v_mul_f16_sdwa v15, v32, v7 dst_sel:DWORD dst_unused:UNUSED_PAD src0_sel:WORD_1 src1_sel:DWORD
	v_pack_b32_f16 v5, v5, v8
	v_fma_f16 v6, v33, v6, v10
	v_mul_f16_sdwa v8, v32, v11 dst_sel:DWORD dst_unused:UNUSED_PAD src0_sel:WORD_1 src1_sel:DWORD
	v_fma_f16 v10, v32, v11, -v15
	s_waitcnt vmcnt(2)
	v_lshrrev_b32_e32 v11, 16, v4
	ds_write_b32 v29, v5 offset:2464
	v_pack_b32_f16 v5, v6, v9
	v_fma_f16 v6, v32, v7, v8
	s_waitcnt vmcnt(1)
	v_mul_f16_sdwa v7, v31, v11 dst_sel:DWORD dst_unused:UNUSED_PAD src0_sel:WORD_1 src1_sel:DWORD
	ds_write2_b32 v29, v2, v5 offset1:176
	v_fma_f16 v5, v31, v4, v7
	v_mul_f16_sdwa v4, v31, v4 dst_sel:DWORD dst_unused:UNUSED_PAD src0_sel:WORD_1 src1_sel:DWORD
	v_fma_f16 v4, v31, v11, -v4
	v_pack_b32_f16 v4, v5, v4
	ds_write_b32 v29, v4 offset:1408
	s_waitcnt vmcnt(0)
	v_lshrrev_b32_e32 v4, 16, v3
	v_mul_f16_sdwa v5, v30, v4 dst_sel:DWORD dst_unused:UNUSED_PAD src0_sel:WORD_1 src1_sel:DWORD
	v_fma_f16 v5, v30, v3, v5
	v_mul_f16_sdwa v3, v30, v3 dst_sel:DWORD dst_unused:UNUSED_PAD src0_sel:WORD_1 src1_sel:DWORD
	v_fma_f16 v3, v30, v4, -v3
	v_pack_b32_f16 v2, v6, v10
	v_pack_b32_f16 v3, v5, v3
	v_add_u32_e32 v4, 0xc00, v29
	ds_write2_b32 v4, v2, v3 offset0:24 offset1:200
	s_and_saveexec_b64 s[2:3], s[0:1]
	s_cbranch_execz .LBB0_3
; %bb.2:
	v_mov_b32_e32 v2, s19
	v_add_co_u32_e32 v0, vcc, s18, v0
	v_addc_co_u32_e32 v1, vcc, v1, v2, vcc
	global_load_dword v2, v[0:1], off
	global_load_dword v3, v[12:13], off offset:2112
	v_mov_b32_e32 v4, s15
	v_add_co_u32_e32 v0, vcc, s14, v0
	v_addc_co_u32_e32 v1, vcc, v1, v4, vcc
	global_load_dword v4, v[0:1], off
	v_add_co_u32_e32 v0, vcc, 0x1000, v12
	v_addc_co_u32_e32 v1, vcc, 0, v13, vcc
	global_load_dword v0, v[0:1], off offset:480
	s_waitcnt vmcnt(3)
	v_lshrrev_b32_e32 v1, 16, v2
	s_waitcnt vmcnt(2)
	v_mul_f16_sdwa v5, v3, v2 dst_sel:DWORD dst_unused:UNUSED_PAD src0_sel:WORD_1 src1_sel:DWORD
	v_mul_f16_sdwa v6, v3, v1 dst_sel:DWORD dst_unused:UNUSED_PAD src0_sel:WORD_1 src1_sel:DWORD
	v_fma_f16 v1, v3, v1, -v5
	v_fma_f16 v2, v3, v2, v6
	v_pack_b32_f16 v1, v2, v1
	ds_write_b32 v29, v1 offset:2112
	s_waitcnt vmcnt(1)
	v_lshrrev_b32_e32 v5, 16, v4
	s_waitcnt vmcnt(0)
	v_mul_f16_sdwa v7, v0, v4 dst_sel:DWORD dst_unused:UNUSED_PAD src0_sel:WORD_1 src1_sel:DWORD
	v_mul_f16_sdwa v3, v0, v5 dst_sel:DWORD dst_unused:UNUSED_PAD src0_sel:WORD_1 src1_sel:DWORD
	v_fma_f16 v5, v0, v5, -v7
	v_fma_f16 v0, v0, v4, v3
	v_pack_b32_f16 v0, v0, v5
	ds_write_b32 v29, v0 offset:4576
.LBB0_3:
	s_or_b64 exec, exec, s[2:3]
	v_add_u32_e32 v0, 0x900, v29
	s_waitcnt lgkmcnt(0)
	s_barrier
	ds_read2_b32 v[2:3], v29 offset1:176
	ds_read2_b32 v[0:1], v0 offset0:40 offset1:216
	ds_read_b32 v4, v29 offset:1408
	ds_read_b32 v5, v29 offset:3872
                                        ; implicit-def: $vgpr8
                                        ; implicit-def: $vgpr9
	s_and_saveexec_b64 s[2:3], s[0:1]
	s_cbranch_execz .LBB0_5
; %bb.4:
	ds_read_b32 v8, v29 offset:2112
	ds_read_b32 v9, v29 offset:4576
.LBB0_5:
	s_or_b64 exec, exec, s[2:3]
	s_load_dwordx2 s[4:5], s[4:5], 0x8
	v_lshlrev_b32_e32 v6, 1, v34
	s_waitcnt lgkmcnt(0)
	v_pk_add_f16 v10, v2, v0 neg_lo:[0,1] neg_hi:[0,1]
	v_add_co_u32_e32 v7, vcc, 0x210, v34
	v_pk_add_f16 v11, v3, v1 neg_lo:[0,1] neg_hi:[0,1]
	v_pk_add_f16 v5, v4, v5 neg_lo:[0,1] neg_hi:[0,1]
	;; [unrolled: 1-line block ×3, first 2 shown]
	v_lshlrev_b32_e32 v28, 3, v34
	v_pk_fma_f16 v9, v2, 2.0, v10 op_sel_hi:[1,0,1] neg_lo:[0,0,1] neg_hi:[0,0,1]
	v_lshlrev_b32_e32 v2, 2, v6
	v_pk_fma_f16 v0, v8, 2.0, v1 op_sel_hi:[1,0,1] neg_lo:[0,0,1] neg_hi:[0,0,1]
	s_barrier
	ds_write_b64 v28, v[9:10]
	v_add_u32_e32 v43, 0x160, v6
	v_pk_fma_f16 v10, v3, 2.0, v11 op_sel_hi:[1,0,1] neg_lo:[0,0,1] neg_hi:[0,0,1]
	v_add_u32_e32 v44, 0x2c0, v6
	v_pk_fma_f16 v4, v4, 2.0, v5 op_sel_hi:[1,0,1] neg_lo:[0,0,1] neg_hi:[0,0,1]
	v_add_u32_e32 v2, 0x400, v2
	v_lshlrev_b32_e32 v27, 3, v7
	ds_write2_b64 v2, v[10:11], v[4:5] offset0:48 offset1:224
	s_and_saveexec_b64 s[2:3], s[0:1]
	s_cbranch_execz .LBB0_7
; %bb.6:
	ds_write_b64 v27, v[0:1]
.LBB0_7:
	s_or_b64 exec, exec, s[2:3]
	v_add_u32_e32 v4, 0x900, v29
	s_waitcnt lgkmcnt(0)
	s_barrier
	ds_read2_b32 v[2:3], v29 offset1:176
	ds_read2_b32 v[4:5], v4 offset0:40 offset1:216
	ds_read_b32 v10, v29 offset:1408
	ds_read_b32 v8, v29 offset:3872
	s_and_saveexec_b64 s[2:3], s[0:1]
	s_cbranch_execz .LBB0_9
; %bb.8:
	ds_read_b32 v0, v29 offset:2112
	ds_read_b32 v1, v29 offset:4576
.LBB0_9:
	s_or_b64 exec, exec, s[2:3]
	v_and_b32_e32 v25, 1, v34
	v_lshlrev_b32_e32 v9, 2, v25
	global_load_dword v26, v9, s[4:5]
	s_movk_i32 s2, 0x1fc
	s_movk_i32 s3, 0x3fc
	s_waitcnt lgkmcnt(2)
	v_lshrrev_b32_e32 v9, 16, v4
	s_waitcnt lgkmcnt(0)
	v_lshrrev_b32_e32 v19, 16, v1
	s_movk_i32 s14, 0x7fc
	v_and_or_b32 v21, v6, s2, v25
	v_and_or_b32 v22, v43, s3, v25
	v_lshrrev_b32_e32 v16, 16, v5
	v_lshrrev_b32_e32 v18, 16, v8
	v_and_or_b32 v23, v44, s14, v25
	v_lshlrev_b32_e32 v42, 2, v21
	v_lshlrev_b32_e32 v41, 2, v22
	v_lshrrev_b32_e32 v11, 16, v2
	v_lshlrev_b32_e32 v40, 2, v23
	v_lshrrev_b32_e32 v15, 16, v3
	v_lshrrev_b32_e32 v17, 16, v10
	;; [unrolled: 1-line block ×3, first 2 shown]
	s_waitcnt vmcnt(0)
	s_barrier
	v_mul_f16_sdwa v21, v9, v26 dst_sel:DWORD dst_unused:UNUSED_PAD src0_sel:DWORD src1_sel:WORD_1
	v_mul_f16_sdwa v22, v4, v26 dst_sel:DWORD dst_unused:UNUSED_PAD src0_sel:DWORD src1_sel:WORD_1
	;; [unrolled: 1-line block ×8, first 2 shown]
	v_fma_f16 v4, v4, v26, -v21
	v_fma_f16 v9, v9, v26, v22
	v_fma_f16 v1, v1, v26, -v45
	v_fma_f16 v5, v5, v26, -v23
	v_fma_f16 v16, v16, v26, v24
	v_fma_f16 v21, v8, v26, -v37
	v_fma_f16 v18, v18, v26, v38
	v_fma_f16 v19, v19, v26, v39
	v_sub_f16_e32 v22, v2, v4
	v_sub_f16_e32 v8, v0, v1
	;; [unrolled: 1-line block ×8, first 2 shown]
	v_fma_f16 v2, v2, 2.0, -v22
	v_fma_f16 v4, v0, 2.0, -v8
	;; [unrolled: 1-line block ×4, first 2 shown]
	v_pack_b32_f16 v1, v22, v1
	v_fma_f16 v11, v15, 2.0, -v16
	v_pack_b32_f16 v15, v5, v16
	v_fma_f16 v10, v10, 2.0, -v21
	v_fma_f16 v16, v17, 2.0, -v18
	;; [unrolled: 1-line block ×3, first 2 shown]
	v_pack_b32_f16 v0, v2, v0
	v_lshlrev_b32_e32 v38, 1, v7
	v_pack_b32_f16 v17, v21, v18
	v_pack_b32_f16 v2, v3, v11
	;; [unrolled: 1-line block ×3, first 2 shown]
	ds_write2_b32 v42, v0, v1 offset1:2
	ds_write2_b32 v41, v2, v15 offset1:2
	;; [unrolled: 1-line block ×3, first 2 shown]
	s_and_saveexec_b64 s[2:3], s[0:1]
	s_cbranch_execz .LBB0_11
; %bb.10:
	s_movk_i32 s14, 0x5fc
	v_and_or_b32 v0, v38, s14, v25
	s_mov_b32 s14, 0x5040100
	v_lshlrev_b32_e32 v0, 2, v0
	v_perm_b32 v1, v5, v4, s14
	v_perm_b32 v2, v9, v8, s14
	ds_write2_b32 v0, v1, v2 offset1:2
.LBB0_11:
	s_or_b64 exec, exec, s[2:3]
	v_add_u32_e32 v2, 0x900, v29
	s_waitcnt lgkmcnt(0)
	s_barrier
	ds_read2_b32 v[0:1], v29 offset1:176
	ds_read2_b32 v[2:3], v2 offset0:40 offset1:216
	ds_read_b32 v10, v29 offset:1408
	ds_read_b32 v7, v29 offset:3872
	s_and_saveexec_b64 s[2:3], s[0:1]
	s_cbranch_execz .LBB0_13
; %bb.12:
	ds_read_b32 v4, v29 offset:2112
	ds_read_b32 v8, v29 offset:4576
	s_waitcnt lgkmcnt(1)
	v_lshrrev_b32_e32 v5, 16, v4
	s_waitcnt lgkmcnt(0)
	v_lshrrev_b32_e32 v9, 16, v8
.LBB0_13:
	s_or_b64 exec, exec, s[2:3]
	v_and_b32_e32 v39, 3, v34
	v_lshlrev_b32_e32 v11, 2, v39
	global_load_dword v45, v11, s[4:5] offset:8
	s_movk_i32 s2, 0x1f8
	s_movk_i32 s3, 0x3f8
	s_waitcnt lgkmcnt(2)
	v_lshrrev_b32_e32 v15, 16, v2
	s_movk_i32 s14, 0x7f8
	v_and_or_b32 v20, v6, s2, v39
	v_and_or_b32 v21, v43, s3, v39
	v_lshrrev_b32_e32 v17, 16, v3
	s_waitcnt lgkmcnt(0)
	v_lshrrev_b32_e32 v19, 16, v7
	v_and_or_b32 v22, v44, s14, v39
	v_lshlrev_b32_e32 v49, 2, v20
	v_lshlrev_b32_e32 v48, 2, v21
	v_lshrrev_b32_e32 v11, 16, v0
	v_lshlrev_b32_e32 v47, 2, v22
	v_lshrrev_b32_e32 v16, 16, v1
	v_lshrrev_b32_e32 v18, 16, v10
	s_waitcnt vmcnt(0)
	s_barrier
	v_mul_f16_sdwa v20, v15, v45 dst_sel:DWORD dst_unused:UNUSED_PAD src0_sel:DWORD src1_sel:WORD_1
	v_mul_f16_sdwa v21, v2, v45 dst_sel:DWORD dst_unused:UNUSED_PAD src0_sel:DWORD src1_sel:WORD_1
	v_mul_f16_sdwa v22, v17, v45 dst_sel:DWORD dst_unused:UNUSED_PAD src0_sel:DWORD src1_sel:WORD_1
	v_mul_f16_sdwa v23, v3, v45 dst_sel:DWORD dst_unused:UNUSED_PAD src0_sel:DWORD src1_sel:WORD_1
	v_mul_f16_sdwa v24, v19, v45 dst_sel:DWORD dst_unused:UNUSED_PAD src0_sel:DWORD src1_sel:WORD_1
	v_mul_f16_sdwa v37, v7, v45 dst_sel:DWORD dst_unused:UNUSED_PAD src0_sel:DWORD src1_sel:WORD_1
	v_mul_f16_sdwa v46, v9, v45 dst_sel:DWORD dst_unused:UNUSED_PAD src0_sel:DWORD src1_sel:WORD_1
	v_mul_f16_sdwa v50, v8, v45 dst_sel:DWORD dst_unused:UNUSED_PAD src0_sel:DWORD src1_sel:WORD_1
	v_fma_f16 v2, v2, v45, -v20
	v_fma_f16 v15, v15, v45, v21
	v_fma_f16 v3, v3, v45, -v22
	v_fma_f16 v17, v17, v45, v23
	;; [unrolled: 2-line block ×4, first 2 shown]
	v_sub_f16_e32 v2, v0, v2
	v_sub_f16_e32 v15, v11, v15
	;; [unrolled: 1-line block ×8, first 2 shown]
	v_fma_f16 v0, v0, 2.0, -v2
	v_fma_f16 v9, v11, 2.0, -v15
	v_fma_f16 v1, v1, 2.0, -v3
	v_fma_f16 v11, v16, 2.0, -v17
	v_fma_f16 v10, v10, 2.0, -v20
	v_fma_f16 v16, v18, 2.0, -v19
	v_fma_f16 v4, v4, 2.0, -v7
	v_fma_f16 v5, v5, 2.0, -v8
	v_pack_b32_f16 v2, v2, v15
	v_pack_b32_f16 v0, v0, v9
	v_pack_b32_f16 v3, v3, v17
	v_pack_b32_f16 v15, v20, v19
	v_pack_b32_f16 v1, v1, v11
	v_pack_b32_f16 v9, v10, v16
	ds_write2_b32 v49, v0, v2 offset1:4
	ds_write2_b32 v48, v1, v3 offset1:4
	;; [unrolled: 1-line block ×3, first 2 shown]
	s_and_saveexec_b64 s[2:3], s[0:1]
	s_cbranch_execz .LBB0_15
; %bb.14:
	s_movk_i32 s14, 0x5f8
	v_and_or_b32 v0, v38, s14, v39
	s_mov_b32 s14, 0x5040100
	v_lshlrev_b32_e32 v0, 2, v0
	v_perm_b32 v1, v5, v4, s14
	v_perm_b32 v2, v8, v7, s14
	ds_write2_b32 v0, v1, v2 offset1:4
.LBB0_15:
	s_or_b64 exec, exec, s[2:3]
	v_add_u32_e32 v2, 0x900, v29
	s_waitcnt lgkmcnt(0)
	s_barrier
	ds_read2_b32 v[0:1], v29 offset1:176
	ds_read2_b32 v[2:3], v2 offset0:40 offset1:216
	ds_read_b32 v15, v29 offset:1408
	ds_read_b32 v9, v29 offset:3872
	s_and_saveexec_b64 s[2:3], s[0:1]
	s_cbranch_execz .LBB0_17
; %bb.16:
	ds_read_b32 v4, v29 offset:2112
	ds_read_b32 v7, v29 offset:4576
	s_waitcnt lgkmcnt(1)
	v_lshrrev_b32_e32 v5, 16, v4
	s_waitcnt lgkmcnt(0)
	v_lshrrev_b32_e32 v8, 16, v7
.LBB0_17:
	s_or_b64 exec, exec, s[2:3]
	v_and_b32_e32 v46, 7, v34
	v_lshlrev_b32_e32 v10, 2, v46
	global_load_dword v50, v10, s[4:5] offset:24
	s_movk_i32 s2, 0x1f0
	s_movk_i32 s3, 0x3f0
	s_waitcnt lgkmcnt(2)
	v_lshrrev_b32_e32 v11, 16, v2
	s_movk_i32 s14, 0x7f0
	v_and_or_b32 v6, v6, s2, v46
	v_and_or_b32 v20, v43, s3, v46
	v_lshrrev_b32_e32 v17, 16, v3
	s_waitcnt lgkmcnt(0)
	v_lshrrev_b32_e32 v18, 16, v9
	v_and_or_b32 v21, v44, s14, v46
	v_lshlrev_b32_e32 v53, 2, v6
	v_lshlrev_b32_e32 v52, 2, v20
	v_lshrrev_b32_e32 v10, 16, v0
	v_lshlrev_b32_e32 v51, 2, v21
	v_lshrrev_b32_e32 v16, 16, v1
	v_lshrrev_b32_e32 v19, 16, v15
	s_waitcnt vmcnt(0)
	s_barrier
	v_mul_f16_sdwa v6, v11, v50 dst_sel:DWORD dst_unused:UNUSED_PAD src0_sel:DWORD src1_sel:WORD_1
	v_mul_f16_sdwa v20, v2, v50 dst_sel:DWORD dst_unused:UNUSED_PAD src0_sel:DWORD src1_sel:WORD_1
	;; [unrolled: 1-line block ×8, first 2 shown]
	v_fma_f16 v2, v2, v50, -v6
	v_fma_f16 v6, v11, v50, v20
	v_fma_f16 v3, v3, v50, -v21
	v_fma_f16 v17, v17, v50, v22
	;; [unrolled: 2-line block ×4, first 2 shown]
	v_sub_f16_e32 v9, v0, v2
	v_sub_f16_e32 v54, v10, v6
	;; [unrolled: 1-line block ×8, first 2 shown]
	v_fma_f16 v8, v0, 2.0, -v9
	v_fma_f16 v23, v10, 2.0, -v54
	;; [unrolled: 1-line block ×8, first 2 shown]
	v_pack_b32_f16 v0, v9, v54
	v_pack_b32_f16 v3, v8, v23
	;; [unrolled: 1-line block ×6, first 2 shown]
	ds_write2_b32 v53, v3, v0 offset1:8
	ds_write2_b32 v52, v4, v1 offset1:8
	;; [unrolled: 1-line block ×3, first 2 shown]
	s_and_saveexec_b64 s[2:3], s[0:1]
	s_cbranch_execz .LBB0_19
; %bb.18:
	s_movk_i32 s14, 0x5f0
	v_and_or_b32 v0, v38, s14, v46
	s_mov_b32 s14, 0x5040100
	v_lshlrev_b32_e32 v0, 2, v0
	v_perm_b32 v1, v59, v19, s14
	v_perm_b32 v2, v58, v20, s14
	ds_write2_b32 v0, v1, v2 offset1:8
.LBB0_19:
	s_or_b64 exec, exec, s[2:3]
	s_movk_i32 s2, 0x70
	v_cmp_gt_u16_e64 s[2:3], s2, v34
	s_waitcnt lgkmcnt(0)
	s_barrier
	s_waitcnt lgkmcnt(0)
                                        ; implicit-def: $vgpr21
                                        ; implicit-def: $vgpr63
                                        ; implicit-def: $vgpr72
                                        ; implicit-def: $vgpr60
                                        ; implicit-def: $vgpr73
	s_and_saveexec_b64 s[14:15], s[2:3]
	s_cbranch_execz .LBB0_21
; %bb.20:
	v_add_u32_e32 v0, 0x200, v29
	ds_read2_b32 v[10:11], v0 offset0:96 offset1:208
	v_add_u32_e32 v0, 0x600, v29
	ds_read2_b32 v[17:18], v0 offset0:64 offset1:176
	;; [unrolled: 2-line block ×3, first 2 shown]
	v_add_u32_e32 v0, 0xc00, v29
	ds_read2_b32 v[8:9], v29 offset1:112
	ds_read2_b32 v[21:22], v0 offset0:128 offset1:240
	ds_read_b32 v60, v29 offset:4480
	s_waitcnt lgkmcnt(5)
	v_lshrrev_b32_e32 v55, 16, v10
	v_lshrrev_b32_e32 v24, 16, v11
	s_waitcnt lgkmcnt(2)
	v_lshrrev_b32_e32 v23, 16, v8
	v_lshrrev_b32_e32 v54, 16, v9
	;; [unrolled: 1-line block ×6, first 2 shown]
	s_waitcnt lgkmcnt(1)
	v_lshrrev_b32_e32 v63, 16, v21
	v_lshrrev_b32_e32 v72, 16, v22
	s_waitcnt lgkmcnt(0)
	v_lshrrev_b32_e32 v73, 16, v60
.LBB0_21:
	s_or_b64 exec, exec, s[14:15]
	v_and_b32_e32 v37, 15, v34
	v_mad_u64_u32 v[61:62], s[14:15], v37, 40, s[4:5]
	s_movk_i32 s18, 0x36a6
	s_mov_b32 s19, 0xb08e
	global_load_dwordx4 v[0:3], v[61:62], off offset:56
	global_load_dwordx4 v[4:7], v[61:62], off offset:72
	global_load_dwordx2 v[15:16], v[61:62], off offset:88
	s_mov_b32 s20, 0xb93d
	s_mov_b32 s21, 0xbbad
	s_movk_i32 s16, 0x3abb
	s_mov_b32 s29, 0xb853
	s_mov_b32 s27, 0xbb47
	s_mov_b32 s22, 0xbbeb
	s_mov_b32 s23, 0xba0c
	s_movk_i32 s30, 0x3482
	s_movk_i32 s28, 0x3beb
	;; [unrolled: 1-line block ×3, first 2 shown]
	s_mov_b32 s26, 0xb482
	s_movk_i32 s25, 0x3853
	s_waitcnt vmcnt(0)
	s_barrier
	v_mul_f16_sdwa v61, v54, v0 dst_sel:DWORD dst_unused:UNUSED_PAD src0_sel:DWORD src1_sel:WORD_1
	v_mul_f16_sdwa v64, v9, v0 dst_sel:DWORD dst_unused:UNUSED_PAD src0_sel:DWORD src1_sel:WORD_1
	;; [unrolled: 1-line block ×14, first 2 shown]
	v_fma_f16 v62, v9, v0, -v61
	v_fma_f16 v9, v54, v0, v64
	v_fma_f16 v64, v10, v1, -v65
	v_fma_f16 v10, v55, v1, v66
	v_fma_f16 v66, v17, v3, -v69
	v_fma_f16 v17, v56, v3, v70
	v_fma_f16 v70, v21, v7, -v79
	v_fma_f16 v21, v63, v7, v80
	v_fma_f16 v63, v73, v16, v84
	v_mul_f16_sdwa v68, v11, v2 dst_sel:DWORD dst_unused:UNUSED_PAD src0_sel:DWORD src1_sel:WORD_1
	v_mul_f16_sdwa v77, v58, v6 dst_sel:DWORD dst_unused:UNUSED_PAD src0_sel:DWORD src1_sel:WORD_1
	v_fma_f16 v65, v11, v2, -v67
	v_fma_f16 v67, v18, v4, -v71
	;; [unrolled: 1-line block ×3, first 2 shown]
	v_fma_f16 v22, v72, v15, v82
	v_fma_f16 v72, v60, v16, -v83
	v_sub_f16_e32 v82, v9, v63
	v_mul_f16_sdwa v75, v59, v5 dst_sel:DWORD dst_unused:UNUSED_PAD src0_sel:DWORD src1_sel:WORD_1
	v_mul_f16_sdwa v78, v20, v6 dst_sel:DWORD dst_unused:UNUSED_PAD src0_sel:DWORD src1_sel:WORD_1
	v_fma_f16 v11, v24, v2, v68
	v_fma_f16 v69, v20, v6, -v77
	v_add_f16_e32 v73, v62, v72
	v_sub_f16_e32 v81, v10, v22
	v_mul_f16_e32 v77, 0xbb47, v82
	v_mul_f16_e32 v86, 0xbbeb, v82
	v_mul_f16_sdwa v74, v18, v4 dst_sel:DWORD dst_unused:UNUSED_PAD src0_sel:DWORD src1_sel:WORD_1
	v_mul_f16_sdwa v76, v19, v5 dst_sel:DWORD dst_unused:UNUSED_PAD src0_sel:DWORD src1_sel:WORD_1
	v_fma_f16 v68, v19, v5, -v75
	v_fma_f16 v61, v58, v6, v78
	v_add_f16_e32 v75, v64, v71
	v_sub_f16_e32 v84, v11, v21
	v_mul_f16_e32 v78, 0xba0c, v81
	v_mul_f16_e32 v88, 0x3482, v81
	v_fma_f16 v19, v73, s18, v77
	v_fma_f16 v20, v73, s19, v86
	;; [unrolled: 1-line block ×4, first 2 shown]
	v_add_f16_e32 v76, v65, v70
	v_sub_f16_e32 v92, v17, v61
	v_mul_f16_e32 v79, 0x3482, v84
	v_mul_f16_e32 v89, 0x3b47, v84
	v_fma_f16 v54, v75, s20, v78
	v_fma_f16 v55, v75, s21, v88
	v_add_f16_e32 v19, v8, v19
	v_add_f16_e32 v20, v8, v20
	;; [unrolled: 1-line block ×3, first 2 shown]
	v_sub_f16_e32 v96, v18, v24
	v_mul_f16_e32 v80, 0x3beb, v92
	v_mul_f16_e32 v90, 0xb853, v92
	v_fma_f16 v56, v76, s21, v79
	v_fma_f16 v57, v76, s18, v89
	v_add_f16_e32 v19, v54, v19
	v_add_f16_e32 v20, v55, v20
	;; [unrolled: 1-line block ×3, first 2 shown]
	v_mul_f16_e32 v74, 0xb853, v82
	v_mul_f16_e32 v83, 0x3853, v96
	;; [unrolled: 1-line block ×3, first 2 shown]
	v_fma_f16 v58, v85, s19, v80
	v_fma_f16 v59, v85, s16, v90
	v_add_f16_e32 v19, v56, v19
	v_add_f16_e32 v20, v57, v20
	v_mul_f16_e32 v87, 0xbb47, v81
	v_fma_f16 v60, v93, s16, v83
	v_fma_f16 v94, v93, s20, v91
	;; [unrolled: 1-line block ×3, first 2 shown]
	v_add_f16_e32 v19, v58, v19
	v_add_f16_e32 v54, v59, v20
	v_sub_f16_e32 v111, v62, v72
	v_add_f16_e32 v95, v8, v95
	v_add_f16_e32 v20, v60, v19
	;; [unrolled: 1-line block ×3, first 2 shown]
	v_fma_f16 v54, v75, s18, v87
	v_add_f16_e32 v120, v9, v63
	v_mul_f16_e32 v94, 0xb853, v111
	v_sub_f16_e32 v113, v64, v71
	v_add_f16_e32 v54, v54, v95
	v_fma_f16 v55, v120, s16, -v94
	v_add_f16_e32 v122, v10, v22
	v_mul_f16_e32 v95, 0xbb47, v113
	v_add_f16_e32 v55, v23, v55
	v_fma_f16 v56, v122, s18, -v95
	v_mul_f16_e32 v98, 0xbb47, v111
	v_add_f16_e32 v55, v56, v55
	v_fma_f16 v56, v120, s18, -v98
	;; [unrolled: 3-line block ×5, first 2 shown]
	v_mul_f16_e32 v108, 0xba0c, v82
	v_add_f16_e32 v57, v58, v57
	v_fma_f16 v58, v73, s20, v108
	v_mul_f16_e32 v109, 0x3beb, v81
	v_add_f16_e32 v58, v8, v58
	v_fma_f16 v59, v75, s19, v109
	v_mul_f16_e32 v114, 0xba0c, v111
	v_add_f16_e32 v58, v59, v58
	v_fma_f16 v59, v120, s20, -v114
	v_mul_f16_e32 v115, 0x3beb, v113
	v_add_f16_e32 v59, v23, v59
	v_fma_f16 v60, v122, s19, -v115
	v_mul_f16_e32 v97, 0xbbeb, v84
	v_sub_f16_e32 v123, v65, v70
	v_add_f16_e32 v59, v60, v59
	v_fma_f16 v60, v76, s19, v97
	v_add_f16_e32 v128, v11, v21
	v_mul_f16_e32 v100, 0xbbeb, v123
	v_add_f16_e32 v54, v60, v54
	v_fma_f16 v60, v128, s19, -v100
	v_mul_f16_e32 v106, 0x3482, v123
	v_add_f16_e32 v55, v60, v55
	v_fma_f16 v60, v128, s21, -v106
	v_mul_f16_e32 v112, 0x3b47, v123
	v_add_f16_e32 v56, v60, v56
	v_fma_f16 v60, v128, s18, -v112
	v_mul_f16_e32 v116, 0xb853, v84
	v_add_f16_e32 v57, v60, v57
	v_fma_f16 v60, v76, s16, v116
	v_mul_f16_e32 v119, 0xb853, v123
	v_add_f16_e32 v58, v60, v58
	v_fma_f16 v60, v128, s16, -v119
	v_mul_f16_e32 v101, 0xba0c, v92
	v_sub_f16_e32 v127, v66, v69
	v_add_f16_e32 v59, v60, v59
	v_fma_f16 v60, v85, s20, v101
	v_add_f16_e32 v131, v17, v61
	v_mul_f16_e32 v102, 0xba0c, v127
	v_add_f16_e32 v54, v60, v54
	v_fma_f16 v60, v131, s20, -v102
	v_mul_f16_e32 v110, 0x3beb, v127
	v_add_f16_e32 v55, v60, v55
	v_fma_f16 v60, v131, s19, -v110
	v_mul_f16_e32 v118, 0xb853, v127
	v_add_f16_e32 v56, v60, v56
	v_fma_f16 v60, v131, s16, -v118
	v_mul_f16_e32 v121, 0xb482, v92
	v_add_f16_e32 v60, v60, v57
	v_fma_f16 v57, v85, s21, v121
	;; [unrolled: 20-line block ×3, first 2 shown]
	v_add_f16_e32 v59, v54, v129
	v_mul_f16_e32 v129, 0x3b47, v130
	v_fma_f16 v54, v132, s18, -v129
	v_add_f16_e32 v60, v54, v133
	v_lshrrev_b32_e32 v54, 4, v34
	s_and_saveexec_b64 s[14:15], s[2:3]
	s_cbranch_execz .LBB0_23
; %bb.22:
	v_mul_f16_e32 v134, 0x3abb, v120
	v_mul_f16_e32 v136, 0x36a6, v120
	;; [unrolled: 1-line block ×9, first 2 shown]
	v_fma_f16 v173, v111, s30, v120
	v_mul_f16_e32 v122, 0x3abb, v122
	v_mul_f16_e32 v150, 0xb08e, v128
	;; [unrolled: 1-line block ×5, first 2 shown]
	v_add_f16_e32 v173, v23, v173
	v_fma_f16 v174, v113, s29, v122
	v_mul_f16_e32 v128, 0xb93d, v128
	s_movk_i32 s29, 0x3a0c
	v_mul_f16_e32 v158, 0xb93d, v131
	v_mul_f16_e32 v160, 0xb08e, v131
	;; [unrolled: 1-line block ×4, first 2 shown]
	v_add_f16_e32 v173, v174, v173
	v_fma_f16 v174, v123, s29, v128
	v_mul_f16_e32 v131, 0x36a6, v131
	v_mul_f16_e32 v166, 0xbbad, v132
	v_mul_f16_e32 v168, 0x3abb, v132
	v_mul_f16_e32 v170, 0xb93d, v132
	v_mul_f16_e32 v172, 0x36a6, v132
	v_add_f16_e32 v173, v174, v173
	v_fma_f16 v174, v127, s27, v131
	v_mul_f16_e32 v132, 0xb08e, v132
	v_add_f16_e32 v173, v174, v173
	v_fma_f16 v174, v130, s28, v132
	v_mul_f16_e32 v82, 0xb482, v82
	v_mul_f16_e32 v133, 0x3abb, v73
	;; [unrolled: 1-line block ×5, first 2 shown]
	v_add_f16_e32 v173, v174, v173
	v_fma_f16 v174, v73, s21, v82
	v_mul_f16_e32 v81, 0x3853, v81
	v_fma_f16 v73, v73, s21, -v82
	v_mul_f16_e32 v141, 0x36a6, v75
	v_mul_f16_e32 v143, 0xb93d, v75
	;; [unrolled: 1-line block ×4, first 2 shown]
	v_fma_f16 v175, v75, s16, v81
	v_mul_f16_e32 v84, 0xba0c, v84
	v_add_f16_e32 v73, v8, v73
	v_fma_f16 v75, v75, s16, -v81
	v_mul_f16_e32 v92, 0x3b47, v92
	v_add_f16_e32 v73, v75, v73
	v_fma_f16 v75, v76, s20, -v84
	;; [unrolled: 3-line block ×3, first 2 shown]
	v_add_f16_e32 v73, v75, v73
	v_fma_f16 v75, v93, s19, -v96
	v_add_f16_e32 v174, v8, v174
	v_add_f16_e32 v73, v75, v73
	;; [unrolled: 1-line block ×3, first 2 shown]
	v_mul_f16_e32 v149, 0xb08e, v76
	v_mul_f16_e32 v151, 0xbbad, v76
	v_mul_f16_e32 v153, 0x36a6, v76
	v_mul_f16_e32 v155, 0x3abb, v76
	v_add_f16_e32 v174, v175, v174
	v_fma_f16 v175, v76, s20, v84
	v_add_f16_e32 v75, v23, v75
	v_add_f16_e32 v76, v115, v148
	;; [unrolled: 1-line block ×9, first 2 shown]
	v_sub_f16_e32 v76, v139, v108
	v_add_f16_e32 v76, v8, v76
	v_sub_f16_e32 v81, v147, v109
	v_mul_f16_e32 v163, 0xbbad, v85
	v_add_f16_e32 v76, v81, v76
	v_sub_f16_e32 v81, v155, v116
	v_mul_f16_e32 v171, 0x36a6, v93
	v_add_f16_e32 v76, v81, v76
	v_sub_f16_e32 v81, v163, v121
	v_add_f16_e32 v76, v81, v76
	v_sub_f16_e32 v81, v171, v126
	v_add_f16_e32 v76, v81, v76
	v_add_f16_e32 v81, v103, v138
	;; [unrolled: 1-line block ×4, first 2 shown]
	v_sub_f16_e32 v77, v135, v77
	v_add_f16_e32 v81, v82, v81
	v_add_f16_e32 v82, v112, v154
	v_add_f16_e32 v77, v8, v77
	v_sub_f16_e32 v78, v143, v78
	v_mul_f16_e32 v159, 0xb08e, v85
	v_add_f16_e32 v81, v82, v81
	v_add_f16_e32 v82, v118, v162
	;; [unrolled: 1-line block ×3, first 2 shown]
	v_sub_f16_e32 v78, v151, v79
	v_mul_f16_e32 v167, 0x3abb, v93
	v_add_f16_e32 v81, v82, v81
	v_add_f16_e32 v82, v124, v170
	;; [unrolled: 1-line block ×3, first 2 shown]
	v_sub_f16_e32 v78, v159, v80
	v_add_f16_e32 v81, v82, v81
	v_sub_f16_e32 v82, v137, v86
	v_add_f16_e32 v77, v78, v77
	v_sub_f16_e32 v78, v167, v83
	v_sub_f16_e32 v74, v133, v74
	v_add_f16_e32 v82, v8, v82
	v_add_f16_e32 v77, v78, v77
	;; [unrolled: 1-line block ×6, first 2 shown]
	v_sub_f16_e32 v84, v145, v88
	v_add_f16_e32 v78, v23, v78
	v_add_f16_e32 v79, v95, v142
	;; [unrolled: 1-line block ×4, first 2 shown]
	v_mul_f16_e32 v161, 0x3abb, v85
	v_add_f16_e32 v82, v84, v82
	v_sub_f16_e32 v84, v153, v89
	v_add_f16_e32 v78, v79, v78
	v_add_f16_e32 v79, v100, v150
	;; [unrolled: 1-line block ×4, first 2 shown]
	v_mul_f16_e32 v169, 0xb93d, v93
	v_add_f16_e32 v82, v84, v82
	v_sub_f16_e32 v84, v161, v90
	v_add_f16_e32 v78, v79, v78
	v_add_f16_e32 v79, v102, v158
	;; [unrolled: 1-line block ×5, first 2 shown]
	v_sub_f16_e32 v84, v169, v91
	v_add_f16_e32 v78, v79, v78
	v_add_f16_e32 v79, v107, v166
	;; [unrolled: 1-line block ×7, first 2 shown]
	v_sub_f16_e32 v79, v141, v87
	v_add_f16_e32 v8, v8, v68
	v_add_f16_e32 v9, v9, v24
	v_mul_f16_e32 v157, 0xb93d, v85
	v_add_f16_e32 v174, v175, v174
	v_fma_f16 v175, v85, s18, v92
	v_fma_f16 v111, v111, s26, v120
	v_add_f16_e32 v84, v23, v84
	v_add_f16_e32 v85, v99, v144
	v_add_f16_e32 v74, v79, v74
	v_sub_f16_e32 v79, v149, v97
	v_add_f16_e32 v8, v8, v69
	v_add_f16_e32 v9, v9, v61
	v_mul_f16_e32 v165, 0xbbad, v93
	v_add_f16_e32 v111, v23, v111
	v_fma_f16 v113, v113, s25, v122
	v_add_f16_e32 v84, v85, v84
	v_add_f16_e32 v85, v106, v152
	v_add_f16_e32 v74, v79, v74
	v_sub_f16_e32 v79, v157, v101
	v_add_f16_e32 v8, v8, v70
	v_add_f16_e32 v9, v9, v21
	;; [unrolled: 1-line block ×3, first 2 shown]
	v_fma_f16 v113, v123, s23, v128
	v_add_f16_e32 v84, v85, v84
	v_add_f16_e32 v85, v110, v160
	;; [unrolled: 1-line block ×3, first 2 shown]
	v_sub_f16_e32 v79, v165, v104
	v_add_f16_e32 v8, v8, v71
	v_add_f16_e32 v9, v9, v22
	v_mul_u32_u24_e32 v10, 0xb0, v54
	v_add_f16_e32 v111, v113, v111
	v_fma_f16 v113, v127, s24, v131
	v_add_f16_e32 v84, v85, v84
	v_add_f16_e32 v85, v117, v168
	;; [unrolled: 1-line block ×5, first 2 shown]
	v_or_b32_e32 v10, v10, v37
	v_add_f16_e32 v111, v113, v111
	v_fma_f16 v113, v130, s22, v132
	v_add_f16_e32 v84, v85, v84
	v_lshlrev_b32_e32 v10, 2, v10
	v_pack_b32_f16 v8, v8, v9
	v_pack_b32_f16 v9, v74, v78
	v_add_f16_e32 v174, v175, v174
	v_fma_f16 v175, v93, s19, v96
	v_add_f16_e32 v111, v113, v111
	ds_write2_b32 v10, v8, v9 offset1:16
	v_pack_b32_f16 v8, v77, v84
	v_pack_b32_f16 v9, v82, v81
	v_add_f16_e32 v174, v175, v174
	ds_write2_b32 v10, v8, v9 offset0:32 offset1:48
	v_pack_b32_f16 v8, v76, v75
	v_pack_b32_f16 v9, v73, v111
	s_mov_b32 s16, 0x5040100
	ds_write2_b32 v10, v8, v9 offset0:64 offset1:80
	v_pack_b32_f16 v8, v174, v173
	v_perm_b32 v9, v60, v59, s16
	ds_write2_b32 v10, v8, v9 offset0:96 offset1:112
	v_perm_b32 v8, v55, v19, s16
	v_perm_b32 v9, v56, v20, s16
	ds_write2_b32 v10, v8, v9 offset0:128 offset1:144
	v_perm_b32 v8, v58, v57, s16
	ds_write_b32 v10, v8 offset:640
.LBB0_23:
	s_or_b64 exec, exec, s[14:15]
	v_mad_u64_u32 v[21:22], s[4:5], v34, 24, s[4:5]
	s_waitcnt lgkmcnt(0)
	s_barrier
	global_load_dwordx4 v[8:11], v[21:22], off offset:696
	global_load_dwordx2 v[17:18], v[21:22], off offset:712
	v_mov_b32_e32 v61, s17
	v_add_u32_e32 v63, 0x500, v29
	v_add_u32_e32 v64, 0xa00, v29
	ds_read2_b32 v[21:22], v29 offset1:176
	ds_read_b32 v65, v29 offset:4224
	ds_read2_b32 v[23:24], v63 offset0:32 offset1:208
	v_addc_co_u32_e64 v66, vcc, 0, v61, s[6:7]
	ds_read2_b32 v[61:62], v64 offset0:64 offset1:240
	s_waitcnt lgkmcnt(3)
	v_lshrrev_b32_e32 v67, 16, v22
	s_waitcnt lgkmcnt(2)
	v_lshrrev_b32_e32 v68, 16, v65
	s_waitcnt lgkmcnt(1)
	v_lshrrev_b32_e32 v69, 16, v23
	v_lshrrev_b32_e32 v70, 16, v24
	s_waitcnt lgkmcnt(0)
	v_lshrrev_b32_e32 v71, 16, v61
	v_lshrrev_b32_e32 v72, 16, v62
	s_movk_i32 s4, 0x2b26
	s_mov_b32 s6, 0xbcab
	s_movk_i32 s5, 0x3b00
	s_waitcnt vmcnt(1)
	v_mul_f16_sdwa v73, v67, v8 dst_sel:DWORD dst_unused:UNUSED_PAD src0_sel:DWORD src1_sel:WORD_1
	v_mul_f16_sdwa v74, v22, v8 dst_sel:DWORD dst_unused:UNUSED_PAD src0_sel:DWORD src1_sel:WORD_1
	v_mul_f16_sdwa v75, v69, v9 dst_sel:DWORD dst_unused:UNUSED_PAD src0_sel:DWORD src1_sel:WORD_1
	v_mul_f16_sdwa v76, v23, v9 dst_sel:DWORD dst_unused:UNUSED_PAD src0_sel:DWORD src1_sel:WORD_1
	v_mul_f16_sdwa v77, v70, v10 dst_sel:DWORD dst_unused:UNUSED_PAD src0_sel:DWORD src1_sel:WORD_1
	v_mul_f16_sdwa v78, v24, v10 dst_sel:DWORD dst_unused:UNUSED_PAD src0_sel:DWORD src1_sel:WORD_1
	v_mul_f16_sdwa v79, v71, v11 dst_sel:DWORD dst_unused:UNUSED_PAD src0_sel:DWORD src1_sel:WORD_1
	v_mul_f16_sdwa v80, v61, v11 dst_sel:DWORD dst_unused:UNUSED_PAD src0_sel:DWORD src1_sel:WORD_1
	s_waitcnt vmcnt(0)
	v_mul_f16_sdwa v81, v72, v17 dst_sel:DWORD dst_unused:UNUSED_PAD src0_sel:DWORD src1_sel:WORD_1
	v_mul_f16_sdwa v82, v62, v17 dst_sel:DWORD dst_unused:UNUSED_PAD src0_sel:DWORD src1_sel:WORD_1
	v_mul_f16_sdwa v83, v68, v18 dst_sel:DWORD dst_unused:UNUSED_PAD src0_sel:DWORD src1_sel:WORD_1
	v_mul_f16_sdwa v84, v65, v18 dst_sel:DWORD dst_unused:UNUSED_PAD src0_sel:DWORD src1_sel:WORD_1
	v_fma_f16 v22, v22, v8, -v73
	v_fma_f16 v67, v67, v8, v74
	v_fma_f16 v23, v23, v9, -v75
	v_fma_f16 v69, v69, v9, v76
	;; [unrolled: 2-line block ×6, first 2 shown]
	v_add_f16_e32 v73, v22, v65
	v_add_f16_e32 v74, v67, v68
	v_sub_f16_e32 v22, v22, v65
	v_sub_f16_e32 v65, v67, v68
	v_add_f16_e32 v67, v23, v62
	v_add_f16_e32 v68, v69, v72
	v_sub_f16_e32 v23, v23, v62
	v_sub_f16_e32 v62, v69, v72
	;; [unrolled: 4-line block ×4, first 2 shown]
	v_sub_f16_e32 v73, v73, v69
	v_sub_f16_e32 v74, v74, v72
	v_sub_f16_e32 v67, v69, v67
	v_sub_f16_e32 v68, v72, v68
	v_add_f16_e32 v69, v69, v70
	v_add_f16_e32 v70, v72, v71
	v_mul_f16_e32 v71, 0x3a52, v73
	v_mul_f16_e32 v72, 0x3a52, v74
	;; [unrolled: 1-line block ×4, first 2 shown]
	v_fma_f16 v67, v67, s4, v71
	v_fma_f16 v68, v68, s4, v72
	s_movk_i32 s4, 0x39e0
	v_add_f16_e32 v77, v24, v23
	v_add_f16_e32 v78, v61, v62
	v_sub_f16_e32 v79, v24, v23
	v_sub_f16_e32 v80, v61, v62
	v_fma_f16 v73, v75, s4, -v73
	v_fma_f16 v74, v76, s4, -v74
	s_mov_b32 s4, 0xb9e0
	v_sub_f16_e32 v24, v22, v24
	v_sub_f16_e32 v61, v65, v61
	;; [unrolled: 1-line block ×4, first 2 shown]
	v_add_f16_e32 v22, v77, v22
	v_add_f16_e32 v65, v78, v65
	v_mul_f16_e32 v77, 0xb846, v79
	v_mul_f16_e32 v78, 0xb846, v80
	v_fma_f16 v71, v75, s4, -v71
	v_fma_f16 v72, v76, s4, -v72
	s_movk_i32 s4, 0x3574
	v_mul_f16_e32 v79, 0x3b00, v23
	v_mul_f16_e32 v80, 0x3b00, v62
	v_add_f16_e32 v81, v21, v69
	v_add_f16_sdwa v21, v21, v70 dst_sel:DWORD dst_unused:UNUSED_PAD src0_sel:WORD_1 src1_sel:DWORD
	v_fma_f16 v75, v24, s4, v77
	v_fma_f16 v76, v61, s4, v78
	s_mov_b32 s4, 0xb574
	v_fma_f16 v69, v69, s6, v81
	v_fma_f16 v70, v70, s6, v21
	v_fma_f16 v24, v24, s4, -v79
	v_fma_f16 v61, v61, s4, -v80
	s_movk_i32 s4, 0x370e
	v_fma_f16 v23, v23, s5, -v77
	v_fma_f16 v62, v62, s5, -v78
	v_add_f16_e32 v67, v67, v69
	v_add_f16_e32 v68, v68, v70
	;; [unrolled: 1-line block ×6, first 2 shown]
	v_fma_f16 v71, v22, s4, v75
	v_fma_f16 v72, v65, s4, v76
	v_fma_f16 v23, v22, s4, v23
	v_fma_f16 v62, v65, s4, v62
	v_fma_f16 v22, v22, s4, v24
	v_fma_f16 v24, v65, s4, v61
	v_add_f16_e32 v65, v72, v67
	v_sub_f16_e32 v75, v68, v71
	v_add_f16_e32 v76, v24, v69
	v_sub_f16_e32 v77, v70, v22
	v_sub_f16_e32 v78, v73, v62
	v_add_f16_e32 v79, v23, v74
	v_pack_b32_f16 v21, v81, v21
	v_pack_b32_f16 v65, v65, v75
	v_add_f16_e32 v73, v62, v73
	v_sub_f16_e32 v23, v74, v23
	v_sub_f16_e32 v24, v69, v24
	v_add_f16_e32 v22, v22, v70
	ds_write2_b32 v29, v21, v65 offset1:176
	v_pack_b32_f16 v21, v76, v77
	v_pack_b32_f16 v65, v78, v79
	v_sub_f16_e32 v61, v67, v72
	v_add_f16_e32 v62, v71, v68
	ds_write2_b32 v63, v21, v65 offset0:32 offset1:208
	v_pack_b32_f16 v21, v73, v23
	v_pack_b32_f16 v22, v24, v22
	ds_write2_b32 v64, v21, v22 offset0:64 offset1:240
	v_pack_b32_f16 v21, v61, v62
	s_movk_i32 s5, 0x1000
	ds_write_b32 v29, v21 offset:4224
	v_add_co_u32_e32 v21, vcc, s5, v12
	v_addc_co_u32_e32 v22, vcc, 0, v66, vcc
	s_waitcnt lgkmcnt(0)
	s_barrier
	global_load_dword v24, v[21:22], off offset:832
	s_movk_i32 s4, 0x1340
	v_add_co_u32_e32 v21, vcc, s4, v12
	v_addc_co_u32_e32 v22, vcc, 0, v66, vcc
	global_load_dword v67, v[21:22], off offset:704
	global_load_dword v68, v[21:22], off offset:2464
	;; [unrolled: 1-line block ×5, first 2 shown]
	ds_read2_b32 v[63:64], v29 offset1:176
	v_add_u32_e32 v23, 0x900, v29
	s_waitcnt lgkmcnt(0)
	v_lshrrev_b32_e32 v65, 16, v63
	v_lshrrev_b32_e32 v72, 16, v64
	s_waitcnt vmcnt(5)
	v_mul_f16_sdwa v66, v65, v24 dst_sel:DWORD dst_unused:UNUSED_PAD src0_sel:DWORD src1_sel:WORD_1
	v_mul_f16_sdwa v73, v63, v24 dst_sel:DWORD dst_unused:UNUSED_PAD src0_sel:DWORD src1_sel:WORD_1
	v_fma_f16 v63, v63, v24, -v66
	v_fma_f16 v24, v65, v24, v73
	v_pack_b32_f16 v24, v63, v24
	ds_write_b32 v29, v24
	ds_read2_b32 v[65:66], v23 offset0:40 offset1:216
	s_waitcnt vmcnt(4)
	v_mul_f16_sdwa v74, v72, v67 dst_sel:DWORD dst_unused:UNUSED_PAD src0_sel:DWORD src1_sel:WORD_1
	v_mul_f16_sdwa v24, v64, v67 dst_sel:DWORD dst_unused:UNUSED_PAD src0_sel:DWORD src1_sel:WORD_1
	v_fma_f16 v63, v64, v67, -v74
	v_fma_f16 v24, v72, v67, v24
	v_pack_b32_f16 v24, v63, v24
	s_waitcnt lgkmcnt(0)
	v_lshrrev_b32_e32 v63, 16, v65
	s_waitcnt vmcnt(3)
	v_mul_f16_sdwa v64, v65, v68 dst_sel:DWORD dst_unused:UNUSED_PAD src0_sel:DWORD src1_sel:WORD_1
	v_mul_f16_sdwa v72, v63, v68 dst_sel:DWORD dst_unused:UNUSED_PAD src0_sel:DWORD src1_sel:WORD_1
	v_lshrrev_b32_e32 v67, 16, v66
	v_fma_f16 v63, v63, v68, v64
	v_fma_f16 v64, v65, v68, -v72
	v_pack_b32_f16 v63, v64, v63
	s_waitcnt vmcnt(2)
	v_mul_f16_sdwa v64, v67, v69 dst_sel:DWORD dst_unused:UNUSED_PAD src0_sel:DWORD src1_sel:WORD_1
	v_fma_f16 v64, v66, v69, -v64
	v_mul_f16_sdwa v65, v66, v69 dst_sel:DWORD dst_unused:UNUSED_PAD src0_sel:DWORD src1_sel:WORD_1
	ds_read_b32 v66, v29 offset:1408
	v_fma_f16 v65, v67, v69, v65
	v_pack_b32_f16 v64, v64, v65
	ds_write2_b32 v23, v63, v64 offset0:40 offset1:216
	ds_read_b32 v63, v29 offset:3872
	s_waitcnt lgkmcnt(2)
	v_lshrrev_b32_e32 v64, 16, v66
	s_waitcnt vmcnt(0)
	v_mul_f16_sdwa v65, v64, v71 dst_sel:DWORD dst_unused:UNUSED_PAD src0_sel:DWORD src1_sel:WORD_1
	v_fma_f16 v65, v66, v71, -v65
	v_mul_f16_sdwa v66, v66, v71 dst_sel:DWORD dst_unused:UNUSED_PAD src0_sel:DWORD src1_sel:WORD_1
	v_fma_f16 v64, v64, v71, v66
	v_pack_b32_f16 v64, v65, v64
	v_add_u32_e32 v65, 0x200, v29
	ds_write2_b32 v65, v24, v64 offset0:48 offset1:224
	s_waitcnt lgkmcnt(1)
	v_lshrrev_b32_e32 v24, 16, v63
	v_mul_f16_sdwa v64, v24, v70 dst_sel:DWORD dst_unused:UNUSED_PAD src0_sel:DWORD src1_sel:WORD_1
	v_fma_f16 v64, v63, v70, -v64
	v_mul_f16_sdwa v63, v63, v70 dst_sel:DWORD dst_unused:UNUSED_PAD src0_sel:DWORD src1_sel:WORD_1
	v_fma_f16 v24, v24, v70, v63
	v_pack_b32_f16 v24, v64, v24
	ds_write_b32 v29, v24 offset:3872
	s_and_saveexec_b64 s[4:5], s[0:1]
	s_cbranch_execz .LBB0_25
; %bb.24:
	global_load_dword v24, v[21:22], off offset:2112
	v_add_co_u32_e32 v21, vcc, 0x1000, v21
	v_addc_co_u32_e32 v22, vcc, 0, v22, vcc
	global_load_dword v21, v[21:22], off offset:480
	ds_read_b32 v22, v29 offset:2112
	ds_read_b32 v63, v29 offset:4576
	s_waitcnt lgkmcnt(1)
	v_lshrrev_b32_e32 v64, 16, v22
	s_waitcnt lgkmcnt(0)
	v_lshrrev_b32_e32 v65, 16, v63
	s_waitcnt vmcnt(1)
	v_mul_f16_sdwa v66, v64, v24 dst_sel:DWORD dst_unused:UNUSED_PAD src0_sel:DWORD src1_sel:WORD_1
	v_mul_f16_sdwa v67, v22, v24 dst_sel:DWORD dst_unused:UNUSED_PAD src0_sel:DWORD src1_sel:WORD_1
	v_fma_f16 v22, v22, v24, -v66
	v_fma_f16 v24, v64, v24, v67
	v_pack_b32_f16 v22, v22, v24
	s_waitcnt vmcnt(0)
	v_mul_f16_sdwa v24, v65, v21 dst_sel:DWORD dst_unused:UNUSED_PAD src0_sel:DWORD src1_sel:WORD_1
	v_mul_f16_sdwa v64, v63, v21 dst_sel:DWORD dst_unused:UNUSED_PAD src0_sel:DWORD src1_sel:WORD_1
	ds_write_b32 v29, v22 offset:2112
	v_fma_f16 v22, v63, v21, -v24
	v_fma_f16 v21, v65, v21, v64
	v_pack_b32_f16 v21, v22, v21
	ds_write_b32 v29, v21 offset:4576
.LBB0_25:
	s_or_b64 exec, exec, s[4:5]
	s_waitcnt lgkmcnt(0)
	s_barrier
	ds_read2_b32 v[21:22], v29 offset1:176
	ds_read2_b32 v[23:24], v23 offset0:40 offset1:216
	ds_read_b32 v64, v29 offset:1408
	ds_read_b32 v66, v29 offset:3872
	v_lshlrev_b32_e32 v65, 2, v43
	v_lshlrev_b32_e32 v63, 2, v44
	s_and_saveexec_b64 s[4:5], s[0:1]
	s_cbranch_execz .LBB0_27
; %bb.26:
	ds_read_b32 v61, v29 offset:2112
	ds_read_b32 v59, v29 offset:4576
	s_waitcnt lgkmcnt(1)
	v_lshrrev_b32_e32 v62, 16, v61
	s_waitcnt lgkmcnt(0)
	v_lshrrev_b32_e32 v60, 16, v59
.LBB0_27:
	s_or_b64 exec, exec, s[4:5]
	s_waitcnt lgkmcnt(2)
	v_pk_add_f16 v67, v21, v23 neg_lo:[0,1] neg_hi:[0,1]
	v_pk_add_f16 v23, v22, v24 neg_lo:[0,1] neg_hi:[0,1]
	s_waitcnt lgkmcnt(0)
	v_pk_add_f16 v24, v64, v66 neg_lo:[0,1] neg_hi:[0,1]
	v_sub_f16_e32 v59, v61, v59
	v_sub_f16_e32 v60, v62, v60
	v_pk_fma_f16 v66, v21, 2.0, v67 op_sel_hi:[1,0,1] neg_lo:[0,0,1] neg_hi:[0,0,1]
	v_pk_fma_f16 v22, v22, 2.0, v23 op_sel_hi:[1,0,1] neg_lo:[0,0,1] neg_hi:[0,0,1]
	v_fma_f16 v43, v61, 2.0, -v59
	v_fma_f16 v44, v62, 2.0, -v60
	s_barrier
	ds_write_b64 v28, v[66:67]
	ds_write_b64 v65, v[22:23]
	v_pk_fma_f16 v23, v64, 2.0, v24 op_sel_hi:[1,0,1] neg_lo:[0,0,1] neg_hi:[0,0,1]
	ds_write_b64 v63, v[23:24]
	s_and_saveexec_b64 s[4:5], s[0:1]
	s_cbranch_execz .LBB0_29
; %bb.28:
	s_mov_b32 s6, 0x5040100
	v_perm_b32 v22, v60, v59, s6
	v_perm_b32 v21, v44, v43, s6
	ds_write_b64 v27, v[21:22]
.LBB0_29:
	s_or_b64 exec, exec, s[4:5]
	v_add_u32_e32 v23, 0x900, v29
	s_waitcnt lgkmcnt(0)
	s_barrier
	ds_read2_b32 v[21:22], v29 offset1:176
	ds_read2_b32 v[23:24], v23 offset0:40 offset1:216
	ds_read_b32 v27, v29 offset:1408
	ds_read_b32 v28, v29 offset:3872
	s_and_saveexec_b64 s[4:5], s[0:1]
	s_cbranch_execz .LBB0_31
; %bb.30:
	ds_read_b32 v43, v29 offset:2112
	ds_read_b32 v59, v29 offset:4576
	s_waitcnt lgkmcnt(1)
	v_lshrrev_b32_e32 v44, 16, v43
	s_waitcnt lgkmcnt(0)
	v_lshrrev_b32_e32 v60, 16, v59
.LBB0_31:
	s_or_b64 exec, exec, s[4:5]
	s_waitcnt lgkmcnt(2)
	v_lshrrev_b32_e32 v62, 16, v23
	v_mul_f16_sdwa v67, v26, v62 dst_sel:DWORD dst_unused:UNUSED_PAD src0_sel:WORD_1 src1_sel:DWORD
	v_lshrrev_b32_e32 v64, 16, v24
	v_fma_f16 v67, v26, v23, v67
	v_mul_f16_sdwa v23, v26, v23 dst_sel:DWORD dst_unused:UNUSED_PAD src0_sel:WORD_1 src1_sel:DWORD
	v_fma_f16 v23, v26, v62, -v23
	v_mul_f16_sdwa v62, v26, v64 dst_sel:DWORD dst_unused:UNUSED_PAD src0_sel:WORD_1 src1_sel:DWORD
	s_waitcnt lgkmcnt(0)
	v_lshrrev_b32_e32 v66, 16, v28
	v_fma_f16 v62, v26, v24, v62
	v_mul_f16_sdwa v24, v26, v24 dst_sel:DWORD dst_unused:UNUSED_PAD src0_sel:WORD_1 src1_sel:DWORD
	v_fma_f16 v24, v26, v64, -v24
	v_mul_f16_sdwa v64, v26, v66 dst_sel:DWORD dst_unused:UNUSED_PAD src0_sel:WORD_1 src1_sel:DWORD
	v_fma_f16 v64, v26, v28, v64
	v_mul_f16_sdwa v28, v26, v28 dst_sel:DWORD dst_unused:UNUSED_PAD src0_sel:WORD_1 src1_sel:DWORD
	v_fma_f16 v28, v26, v66, -v28
	v_mul_f16_sdwa v66, v26, v60 dst_sel:DWORD dst_unused:UNUSED_PAD src0_sel:WORD_1 src1_sel:DWORD
	v_lshrrev_b32_e32 v61, 16, v21
	v_fma_f16 v66, v26, v59, v66
	v_mul_f16_sdwa v59, v26, v59 dst_sel:DWORD dst_unused:UNUSED_PAD src0_sel:WORD_1 src1_sel:DWORD
	v_lshrrev_b32_e32 v63, 16, v22
	v_fma_f16 v26, v26, v60, -v59
	v_sub_f16_e32 v60, v21, v67
	v_sub_f16_e32 v23, v61, v23
	v_lshrrev_b32_e32 v65, 16, v27
	v_fma_f16 v21, v21, 2.0, -v60
	v_fma_f16 v61, v61, 2.0, -v23
	v_sub_f16_e32 v62, v22, v62
	v_sub_f16_e32 v24, v63, v24
	v_fma_f16 v22, v22, 2.0, -v62
	v_fma_f16 v63, v63, 2.0, -v24
	v_sub_f16_e32 v64, v27, v64
	v_sub_f16_e32 v67, v65, v28
	v_pack_b32_f16 v21, v21, v61
	v_pack_b32_f16 v23, v60, v23
	v_fma_f16 v68, v27, 2.0, -v64
	v_fma_f16 v65, v65, 2.0, -v67
	v_sub_f16_e32 v27, v43, v66
	v_sub_f16_e32 v59, v44, v26
	s_barrier
	ds_write2_b32 v42, v21, v23 offset1:2
	v_pack_b32_f16 v21, v22, v63
	v_pack_b32_f16 v22, v62, v24
	v_fma_f16 v26, v43, 2.0, -v27
	v_fma_f16 v28, v44, 2.0, -v59
	ds_write2_b32 v41, v21, v22 offset1:2
	v_pack_b32_f16 v21, v68, v65
	v_pack_b32_f16 v22, v64, v67
	ds_write2_b32 v40, v21, v22 offset1:2
	s_and_saveexec_b64 s[4:5], s[0:1]
	s_cbranch_execz .LBB0_33
; %bb.32:
	s_movk_i32 s6, 0x5fc
	v_and_or_b32 v21, v38, s6, v25
	s_mov_b32 s6, 0x5040100
	v_lshlrev_b32_e32 v21, 2, v21
	v_perm_b32 v22, v28, v26, s6
	v_perm_b32 v23, v59, v27, s6
	ds_write2_b32 v21, v22, v23 offset1:2
.LBB0_33:
	s_or_b64 exec, exec, s[4:5]
	v_add_u32_e32 v23, 0x900, v29
	s_waitcnt lgkmcnt(0)
	s_barrier
	ds_read2_b32 v[21:22], v29 offset1:176
	ds_read2_b32 v[23:24], v23 offset0:40 offset1:216
	ds_read_b32 v25, v29 offset:1408
	ds_read_b32 v40, v29 offset:3872
	s_and_saveexec_b64 s[4:5], s[0:1]
	s_cbranch_execz .LBB0_35
; %bb.34:
	ds_read_b32 v26, v29 offset:2112
	ds_read_b32 v27, v29 offset:4576
	s_waitcnt lgkmcnt(1)
	v_lshrrev_b32_e32 v28, 16, v26
	s_waitcnt lgkmcnt(0)
	v_lshrrev_b32_e32 v59, 16, v27
.LBB0_35:
	s_or_b64 exec, exec, s[4:5]
	s_waitcnt lgkmcnt(2)
	v_lshrrev_b32_e32 v42, 16, v23
	v_mul_f16_sdwa v62, v45, v42 dst_sel:DWORD dst_unused:UNUSED_PAD src0_sel:WORD_1 src1_sel:DWORD
	v_lshrrev_b32_e32 v44, 16, v24
	v_fma_f16 v62, v45, v23, v62
	v_mul_f16_sdwa v23, v45, v23 dst_sel:DWORD dst_unused:UNUSED_PAD src0_sel:WORD_1 src1_sel:DWORD
	v_fma_f16 v23, v45, v42, -v23
	v_mul_f16_sdwa v42, v45, v44 dst_sel:DWORD dst_unused:UNUSED_PAD src0_sel:WORD_1 src1_sel:DWORD
	s_waitcnt lgkmcnt(0)
	v_lshrrev_b32_e32 v61, 16, v40
	v_fma_f16 v42, v45, v24, v42
	v_mul_f16_sdwa v24, v45, v24 dst_sel:DWORD dst_unused:UNUSED_PAD src0_sel:WORD_1 src1_sel:DWORD
	v_fma_f16 v24, v45, v44, -v24
	v_mul_f16_sdwa v44, v45, v61 dst_sel:DWORD dst_unused:UNUSED_PAD src0_sel:WORD_1 src1_sel:DWORD
	v_fma_f16 v44, v45, v40, v44
	v_mul_f16_sdwa v40, v45, v40 dst_sel:DWORD dst_unused:UNUSED_PAD src0_sel:WORD_1 src1_sel:DWORD
	v_fma_f16 v40, v45, v61, -v40
	v_mul_f16_sdwa v61, v45, v59 dst_sel:DWORD dst_unused:UNUSED_PAD src0_sel:WORD_1 src1_sel:DWORD
	v_lshrrev_b32_e32 v41, 16, v21
	v_fma_f16 v61, v45, v27, v61
	v_mul_f16_sdwa v27, v45, v27 dst_sel:DWORD dst_unused:UNUSED_PAD src0_sel:WORD_1 src1_sel:DWORD
	v_lshrrev_b32_e32 v43, 16, v22
	v_fma_f16 v27, v45, v59, -v27
	v_sub_f16_e32 v45, v21, v62
	v_sub_f16_e32 v23, v41, v23
	v_lshrrev_b32_e32 v60, 16, v25
	v_fma_f16 v21, v21, 2.0, -v45
	v_fma_f16 v41, v41, 2.0, -v23
	v_sub_f16_e32 v42, v22, v42
	v_sub_f16_e32 v24, v43, v24
	v_fma_f16 v22, v22, 2.0, -v42
	v_fma_f16 v59, v43, 2.0, -v24
	v_sub_f16_e32 v44, v25, v44
	v_sub_f16_e32 v62, v60, v40
	v_pack_b32_f16 v21, v21, v41
	v_pack_b32_f16 v23, v45, v23
	v_fma_f16 v63, v25, 2.0, -v44
	v_fma_f16 v60, v60, 2.0, -v62
	v_sub_f16_e32 v25, v26, v61
	v_sub_f16_e32 v40, v28, v27
	s_barrier
	ds_write2_b32 v49, v21, v23 offset1:4
	v_pack_b32_f16 v21, v22, v59
	v_pack_b32_f16 v22, v42, v24
	v_fma_f16 v27, v26, 2.0, -v25
	v_fma_f16 v43, v28, 2.0, -v40
	ds_write2_b32 v48, v21, v22 offset1:4
	v_pack_b32_f16 v21, v63, v60
	v_pack_b32_f16 v22, v44, v62
	ds_write2_b32 v47, v21, v22 offset1:4
	s_and_saveexec_b64 s[4:5], s[0:1]
	s_cbranch_execz .LBB0_37
; %bb.36:
	s_movk_i32 s6, 0x5f8
	v_and_or_b32 v21, v38, s6, v39
	s_mov_b32 s6, 0x5040100
	v_lshlrev_b32_e32 v21, 2, v21
	v_perm_b32 v22, v43, v27, s6
	v_perm_b32 v23, v40, v25, s6
	ds_write2_b32 v21, v22, v23 offset1:4
.LBB0_37:
	s_or_b64 exec, exec, s[4:5]
	v_add_u32_e32 v21, 0x900, v29
	s_waitcnt lgkmcnt(0)
	s_barrier
	ds_read2_b32 v[23:24], v29 offset1:176
	ds_read2_b32 v[21:22], v21 offset0:40 offset1:216
	ds_read_b32 v28, v29 offset:1408
	ds_read_b32 v26, v29 offset:3872
	s_and_saveexec_b64 s[4:5], s[0:1]
	s_cbranch_execz .LBB0_39
; %bb.38:
	ds_read_b32 v27, v29 offset:2112
	ds_read_b32 v25, v29 offset:4576
	s_waitcnt lgkmcnt(1)
	v_lshrrev_b32_e32 v43, 16, v27
	s_waitcnt lgkmcnt(0)
	v_lshrrev_b32_e32 v40, 16, v25
.LBB0_39:
	s_or_b64 exec, exec, s[4:5]
	s_waitcnt lgkmcnt(2)
	v_lshrrev_b32_e32 v41, 16, v21
	v_mul_f16_sdwa v48, v50, v41 dst_sel:DWORD dst_unused:UNUSED_PAD src0_sel:WORD_1 src1_sel:DWORD
	v_lshrrev_b32_e32 v42, 16, v22
	v_fma_f16 v48, v50, v21, v48
	v_mul_f16_sdwa v21, v50, v21 dst_sel:DWORD dst_unused:UNUSED_PAD src0_sel:WORD_1 src1_sel:DWORD
	v_fma_f16 v21, v50, v41, -v21
	v_mul_f16_sdwa v41, v50, v42 dst_sel:DWORD dst_unused:UNUSED_PAD src0_sel:WORD_1 src1_sel:DWORD
	s_waitcnt lgkmcnt(0)
	v_lshrrev_b32_e32 v47, 16, v26
	v_fma_f16 v41, v50, v22, v41
	v_mul_f16_sdwa v22, v50, v22 dst_sel:DWORD dst_unused:UNUSED_PAD src0_sel:WORD_1 src1_sel:DWORD
	v_fma_f16 v42, v50, v42, -v22
	v_mul_f16_sdwa v22, v50, v47 dst_sel:DWORD dst_unused:UNUSED_PAD src0_sel:WORD_1 src1_sel:DWORD
	v_fma_f16 v49, v50, v26, v22
	v_mul_f16_sdwa v22, v50, v26 dst_sel:DWORD dst_unused:UNUSED_PAD src0_sel:WORD_1 src1_sel:DWORD
	v_fma_f16 v59, v50, v47, -v22
	v_mul_f16_sdwa v22, v50, v40 dst_sel:DWORD dst_unused:UNUSED_PAD src0_sel:WORD_1 src1_sel:DWORD
	v_lshrrev_b32_e32 v39, 16, v23
	v_fma_f16 v60, v50, v25, v22
	v_mul_f16_sdwa v22, v50, v25 dst_sel:DWORD dst_unused:UNUSED_PAD src0_sel:WORD_1 src1_sel:DWORD
	v_lshrrev_b32_e32 v44, 16, v24
	v_fma_f16 v50, v50, v40, -v22
	v_sub_f16_e32 v22, v23, v48
	v_sub_f16_e32 v47, v39, v21
	v_lshrrev_b32_e32 v45, 16, v28
	v_fma_f16 v21, v23, 2.0, -v22
	v_fma_f16 v39, v39, 2.0, -v47
	v_sub_f16_e32 v26, v24, v41
	v_sub_f16_e32 v42, v44, v42
	v_fma_f16 v25, v24, 2.0, -v26
	v_fma_f16 v44, v44, 2.0, -v42
	v_sub_f16_e32 v24, v28, v49
	v_sub_f16_e32 v40, v45, v59
	v_pack_b32_f16 v48, v21, v39
	v_pack_b32_f16 v49, v22, v47
	v_fma_f16 v23, v28, 2.0, -v24
	v_fma_f16 v41, v45, 2.0, -v40
	v_sub_f16_e32 v28, v27, v60
	v_sub_f16_e32 v45, v43, v50
	s_barrier
	ds_write2_b32 v53, v48, v49 offset1:8
	v_pack_b32_f16 v48, v25, v44
	v_pack_b32_f16 v49, v26, v42
	v_fma_f16 v27, v27, 2.0, -v28
	v_fma_f16 v43, v43, 2.0, -v45
	ds_write2_b32 v52, v48, v49 offset1:8
	v_pack_b32_f16 v48, v23, v41
	v_pack_b32_f16 v49, v24, v40
	ds_write2_b32 v51, v48, v49 offset1:8
	s_and_saveexec_b64 s[4:5], s[0:1]
	s_cbranch_execz .LBB0_41
; %bb.40:
	s_movk_i32 s6, 0x5f0
	v_and_or_b32 v38, v38, s6, v46
	s_mov_b32 s6, 0x5040100
	v_lshlrev_b32_e32 v38, 2, v38
	v_perm_b32 v46, v43, v27, s6
	v_perm_b32 v48, v45, v28, s6
	ds_write2_b32 v38, v46, v48 offset1:8
.LBB0_41:
	s_or_b64 exec, exec, s[4:5]
	s_waitcnt lgkmcnt(0)
	s_barrier
	s_and_saveexec_b64 s[4:5], s[2:3]
	s_cbranch_execz .LBB0_43
; %bb.42:
	v_add_u32_e32 v19, 0x200, v29
	ds_read2_b32 v[25:26], v19 offset0:96 offset1:208
	v_add_u32_e32 v19, 0x600, v29
	ds_read2_b32 v[23:24], v19 offset0:64 offset1:176
	;; [unrolled: 2-line block ×3, first 2 shown]
	v_add_u32_e32 v19, 0xc00, v29
	ds_read2_b32 v[21:22], v29 offset1:112
	ds_read2_b32 v[19:20], v19 offset0:128 offset1:240
	ds_read_b32 v57, v29 offset:4480
	s_waitcnt lgkmcnt(5)
	v_lshrrev_b32_e32 v44, 16, v25
	v_lshrrev_b32_e32 v42, 16, v26
	s_waitcnt lgkmcnt(2)
	v_lshrrev_b32_e32 v39, 16, v21
	v_lshrrev_b32_e32 v47, 16, v22
	;; [unrolled: 1-line block ×6, first 2 shown]
	s_waitcnt lgkmcnt(1)
	v_lshrrev_b32_e32 v55, 16, v19
	v_lshrrev_b32_e32 v56, 16, v20
	s_waitcnt lgkmcnt(0)
	v_lshrrev_b32_e32 v58, 16, v57
.LBB0_43:
	s_or_b64 exec, exec, s[4:5]
	s_barrier
	s_and_saveexec_b64 s[4:5], s[2:3]
	s_cbranch_execz .LBB0_45
; %bb.44:
	v_mul_f16_sdwa v38, v0, v47 dst_sel:DWORD dst_unused:UNUSED_PAD src0_sel:WORD_1 src1_sel:DWORD
	v_mul_f16_sdwa v46, v16, v58 dst_sel:DWORD dst_unused:UNUSED_PAD src0_sel:WORD_1 src1_sel:DWORD
	;; [unrolled: 1-line block ×4, first 2 shown]
	v_fma_f16 v38, v0, v22, v38
	v_fma_f16 v46, v16, v57, v46
	v_fma_f16 v16, v16, v58, -v50
	v_mul_f16_sdwa v22, v0, v22 dst_sel:DWORD dst_unused:UNUSED_PAD src0_sel:WORD_1 src1_sel:DWORD
	v_mul_f16_sdwa v50, v1, v44 dst_sel:DWORD dst_unused:UNUSED_PAD src0_sel:WORD_1 src1_sel:DWORD
	v_fma_f16 v51, v15, v20, v51
	v_mul_f16_sdwa v20, v15, v20 dst_sel:DWORD dst_unused:UNUSED_PAD src0_sel:WORD_1 src1_sel:DWORD
	v_sub_f16_e32 v48, v38, v46
	v_fma_f16 v0, v0, v47, -v22
	v_fma_f16 v50, v1, v25, v50
	v_fma_f16 v15, v15, v56, -v20
	v_mul_f16_sdwa v20, v1, v25 dst_sel:DWORD dst_unused:UNUSED_PAD src0_sel:WORD_1 src1_sel:DWORD
	v_mul_f16_e32 v49, 0xba0c, v48
	v_add_f16_e32 v22, v16, v0
	s_mov_b32 s2, 0xb93d
	v_sub_f16_e32 v52, v50, v51
	v_fma_f16 v1, v1, v44, -v20
	v_fma_f16 v47, v22, s2, v49
	v_mul_f16_e32 v53, 0x3beb, v52
	v_add_f16_e32 v20, v15, v1
	s_mov_b32 s6, 0xb08e
	v_add_f16_e32 v47, v39, v47
	v_fma_f16 v25, v20, s6, v53
	v_add_f16_e32 v25, v25, v47
	v_mul_f16_sdwa v47, v7, v55 dst_sel:DWORD dst_unused:UNUSED_PAD src0_sel:WORD_1 src1_sel:DWORD
	v_mul_f16_sdwa v44, v2, v42 dst_sel:DWORD dst_unused:UNUSED_PAD src0_sel:WORD_1 src1_sel:DWORD
	v_fma_f16 v47, v7, v19, v47
	v_mul_f16_sdwa v19, v7, v19 dst_sel:DWORD dst_unused:UNUSED_PAD src0_sel:WORD_1 src1_sel:DWORD
	v_fma_f16 v44, v2, v26, v44
	v_fma_f16 v7, v7, v55, -v19
	v_mul_f16_sdwa v19, v2, v26 dst_sel:DWORD dst_unused:UNUSED_PAD src0_sel:WORD_1 src1_sel:DWORD
	v_sub_f16_e32 v56, v44, v47
	v_fma_f16 v2, v2, v42, -v19
	v_mul_f16_e32 v57, 0xb853, v56
	v_add_f16_e32 v19, v7, v2
	s_movk_i32 s7, 0x3abb
	v_fma_f16 v26, v19, s7, v57
	v_add_f16_e32 v25, v26, v25
	v_mul_f16_sdwa v26, v3, v41 dst_sel:DWORD dst_unused:UNUSED_PAD src0_sel:WORD_1 src1_sel:DWORD
	v_mul_f16_sdwa v42, v6, v45 dst_sel:DWORD dst_unused:UNUSED_PAD src0_sel:WORD_1 src1_sel:DWORD
	v_fma_f16 v26, v3, v23, v26
	v_fma_f16 v42, v6, v28, v42
	v_mul_f16_sdwa v28, v6, v28 dst_sel:DWORD dst_unused:UNUSED_PAD src0_sel:WORD_1 src1_sel:DWORD
	v_mul_f16_sdwa v23, v3, v23 dst_sel:DWORD dst_unused:UNUSED_PAD src0_sel:WORD_1 src1_sel:DWORD
	v_sub_f16_e32 v55, v26, v42
	v_fma_f16 v6, v6, v45, -v28
	v_fma_f16 v3, v3, v41, -v23
	v_mul_f16_e32 v58, 0xb482, v55
	v_add_f16_e32 v23, v6, v3
	s_mov_b32 s16, 0xbbad
	v_fma_f16 v28, v23, s16, v58
	v_add_f16_e32 v25, v28, v25
	v_mul_f16_sdwa v28, v4, v40 dst_sel:DWORD dst_unused:UNUSED_PAD src0_sel:WORD_1 src1_sel:DWORD
	v_mul_f16_sdwa v41, v5, v43 dst_sel:DWORD dst_unused:UNUSED_PAD src0_sel:WORD_1 src1_sel:DWORD
	v_fma_f16 v28, v4, v24, v28
	v_fma_f16 v41, v5, v27, v41
	v_mul_f16_sdwa v27, v5, v27 dst_sel:DWORD dst_unused:UNUSED_PAD src0_sel:WORD_1 src1_sel:DWORD
	v_mul_f16_sdwa v24, v4, v24 dst_sel:DWORD dst_unused:UNUSED_PAD src0_sel:WORD_1 src1_sel:DWORD
	v_sub_f16_e32 v45, v28, v41
	v_fma_f16 v5, v5, v43, -v27
	v_fma_f16 v4, v4, v40, -v24
	v_mul_f16_e32 v59, 0x3b47, v45
	v_add_f16_e32 v24, v5, v4
	v_fma_f16 v27, v24, s18, v59
	v_sub_f16_e32 v40, v0, v16
	v_add_f16_e32 v25, v27, v25
	v_add_f16_e32 v27, v46, v38
	v_mul_f16_e32 v43, 0xba0c, v40
	v_sub_f16_e32 v62, v1, v15
	v_fma_f16 v60, v27, s2, -v43
	v_add_f16_e32 v61, v51, v50
	v_mul_f16_e32 v63, 0x3beb, v62
	v_add_f16_e32 v60, v21, v60
	v_fma_f16 v64, v61, s6, -v63
	v_sub_f16_e32 v65, v2, v7
	v_add_f16_e32 v60, v64, v60
	v_add_f16_e32 v64, v47, v44
	v_mul_f16_e32 v66, 0xb853, v65
	v_fma_f16 v67, v64, s7, -v66
	v_sub_f16_e32 v68, v3, v6
	v_add_f16_e32 v60, v67, v60
	v_add_f16_e32 v67, v42, v26
	v_mul_f16_e32 v69, 0xb482, v68
	;; [unrolled: 5-line block ×3, first 2 shown]
	v_fma_f16 v73, v70, s18, -v72
	v_fma_f16 v49, v22, s2, -v49
	v_add_f16_e32 v60, v73, v60
	v_mul_f16_e32 v73, 0xb482, v48
	v_add_f16_e32 v49, v39, v49
	v_fma_f16 v53, v20, s6, -v53
	v_fma_f16 v74, v22, s16, v73
	v_mul_f16_e32 v75, 0x3853, v52
	v_add_f16_e32 v49, v53, v49
	v_fma_f16 v53, v19, s7, -v57
	v_add_f16_e32 v74, v39, v74
	v_fma_f16 v76, v20, s7, v75
	v_add_f16_e32 v49, v53, v49
	v_fma_f16 v53, v23, s16, -v58
	v_add_f16_e32 v74, v76, v74
	v_mul_f16_e32 v76, 0xba0c, v56
	v_add_f16_e32 v49, v53, v49
	v_fma_f16 v53, v24, s18, -v59
	v_fma_f16 v43, v27, s2, v43
	v_fma_f16 v77, v19, s2, v76
	v_add_f16_e32 v49, v53, v49
	v_add_f16_e32 v43, v21, v43
	v_fma_f16 v53, v61, s6, v63
	v_add_f16_e32 v74, v77, v74
	v_mul_f16_e32 v77, 0x3b47, v55
	v_add_f16_e32 v43, v53, v43
	v_fma_f16 v53, v64, s7, v66
	v_fma_f16 v78, v23, s18, v77
	v_add_f16_e32 v43, v53, v43
	v_fma_f16 v53, v67, s16, v69
	v_add_f16_e32 v74, v78, v74
	v_mul_f16_e32 v78, 0xbbeb, v45
	v_add_f16_e32 v43, v53, v43
	v_fma_f16 v53, v70, s18, v72
	s_movk_i32 s14, 0x3beb
	v_fma_f16 v79, v24, s6, v78
	v_fma_f16 v73, v22, s16, -v73
	v_add_f16_e32 v43, v53, v43
	v_mul_f16_e32 v53, 0xb08e, v22
	s_mov_b32 s17, 0xb482
	v_add_f16_e32 v74, v79, v74
	v_mul_f16_e32 v79, 0xb482, v40
	v_add_f16_e32 v73, v39, v73
	v_fma_f16 v75, v20, s7, -v75
	v_fma_f16 v57, v48, s14, v53
	v_mul_f16_e32 v58, 0xbbad, v20
	v_fma_f16 v80, v27, s16, -v79
	v_mul_f16_e32 v81, 0x3853, v62
	v_add_f16_e32 v73, v75, v73
	v_fma_f16 v75, v19, s2, -v76
	v_add_f16_e32 v57, v39, v57
	v_fma_f16 v59, v52, s17, v58
	v_add_f16_e32 v80, v21, v80
	v_fma_f16 v82, v61, s7, -v81
	v_add_f16_e32 v73, v75, v73
	v_fma_f16 v75, v23, s18, -v77
	v_add_f16_e32 v57, v59, v57
	v_mul_f16_e32 v59, 0x36a6, v19
	s_mov_b32 s22, 0xbb47
	v_add_f16_e32 v80, v82, v80
	v_mul_f16_e32 v82, 0xba0c, v65
	v_add_f16_e32 v73, v75, v73
	v_fma_f16 v75, v24, s6, -v78
	v_fma_f16 v63, v56, s22, v59
	s_movk_i32 s21, 0x3853
	v_fma_f16 v83, v64, s2, -v82
	v_add_f16_e32 v73, v75, v73
	v_fma_f16 v75, v27, s16, v79
	v_add_f16_e32 v57, v63, v57
	v_mul_f16_e32 v63, 0x3abb, v23
	v_add_f16_e32 v80, v83, v80
	v_mul_f16_e32 v83, 0x3b47, v68
	v_add_f16_e32 v75, v21, v75
	v_fma_f16 v76, v61, s7, v81
	v_fma_f16 v66, v55, s21, v63
	v_fma_f16 v84, v67, s18, -v83
	v_add_f16_e32 v75, v76, v75
	v_fma_f16 v76, v64, s2, v82
	v_add_f16_e32 v57, v66, v57
	v_mul_f16_e32 v66, 0xb93d, v24
	s_movk_i32 s23, 0x3a0c
	v_add_f16_e32 v80, v84, v80
	v_mul_f16_e32 v84, 0xbbeb, v71
	v_add_f16_e32 v75, v76, v75
	v_fma_f16 v76, v67, s18, v83
	v_fma_f16 v69, v45, s23, v66
	v_add_f16_e32 v75, v76, v75
	v_fma_f16 v76, v70, s6, v84
	v_add_f16_e32 v57, v69, v57
	v_mul_f16_e32 v69, 0xbbeb, v40
	v_add_f16_e32 v75, v76, v75
	v_fma_f16 v72, v27, s6, v69
	v_mul_f16_e32 v76, 0x3482, v62
	v_add_f16_e32 v72, v21, v72
	v_fma_f16 v77, v61, s16, v76
	v_add_f16_e32 v72, v77, v72
	v_mul_f16_e32 v77, 0x3b47, v65
	v_fma_f16 v78, v64, s18, v77
	v_add_f16_e32 v72, v78, v72
	v_mul_f16_e32 v78, 0xb853, v68
	s_mov_b32 s20, 0xbbeb
	v_fma_f16 v79, v67, s7, v78
	v_add_f16_e32 v0, v0, v39
	s_movk_i32 s24, 0x3482
	v_add_f16_e32 v72, v79, v72
	v_mul_f16_e32 v79, 0xba0c, v71
	v_add_f16_e32 v0, v1, v0
	v_fma_f16 v1, v48, s20, v53
	s_movk_i32 s19, 0x3b47
	v_fma_f16 v81, v70, s2, v79
	v_add_f16_e32 v0, v2, v0
	v_add_f16_e32 v1, v39, v1
	v_fma_f16 v2, v52, s24, v58
	s_mov_b32 s15, 0xb853
	v_add_f16_e32 v72, v81, v72
	v_mul_f16_e32 v81, 0x36a6, v22
	v_add_f16_e32 v1, v2, v1
	v_fma_f16 v2, v56, s19, v59
	s_mov_b32 s3, 0xba0c
	v_fma_f16 v82, v48, s19, v81
	v_mul_f16_e32 v83, 0xb93d, v20
	v_add_f16_e32 v1, v2, v1
	v_fma_f16 v2, v55, s15, v63
	v_fma_f16 v85, v70, s6, -v84
	v_add_f16_e32 v82, v39, v82
	v_fma_f16 v84, v52, s23, v83
	v_add_f16_e32 v1, v2, v1
	v_fma_f16 v2, v45, s3, v66
	v_add_f16_e32 v82, v84, v82
	v_mul_f16_e32 v84, 0xbbad, v19
	v_add_f16_e32 v1, v2, v1
	v_fma_f16 v2, v27, s6, -v69
	v_add_f16_e32 v80, v85, v80
	v_fma_f16 v85, v56, s17, v84
	v_add_f16_e32 v0, v3, v0
	v_add_f16_e32 v2, v21, v2
	v_fma_f16 v3, v61, s16, -v76
	v_add_f16_e32 v82, v85, v82
	v_mul_f16_e32 v85, 0xb08e, v23
	v_add_f16_e32 v2, v3, v2
	v_fma_f16 v3, v64, s18, -v77
	v_fma_f16 v86, v55, s20, v85
	v_add_f16_e32 v2, v3, v2
	v_fma_f16 v3, v67, s7, -v78
	v_add_f16_e32 v82, v86, v82
	v_mul_f16_e32 v86, 0x3abb, v24
	v_add_f16_e32 v2, v3, v2
	v_fma_f16 v3, v70, s2, -v79
	v_fma_f16 v87, v45, s15, v86
	v_add_f16_e32 v2, v3, v2
	v_fma_f16 v3, v48, s22, v81
	v_add_f16_e32 v82, v87, v82
	v_mul_f16_e32 v87, 0xbb47, v40
	v_add_f16_e32 v0, v4, v0
	v_add_f16_e32 v3, v39, v3
	v_fma_f16 v4, v52, s3, v83
	v_fma_f16 v88, v27, s18, v87
	v_mul_f16_e32 v89, 0xba0c, v62
	v_add_f16_e32 v3, v4, v3
	v_fma_f16 v4, v56, s24, v84
	v_add_f16_e32 v88, v21, v88
	v_fma_f16 v90, v61, s2, v89
	;; [unrolled: 2-line block ×3, first 2 shown]
	v_add_f16_e32 v88, v90, v88
	v_mul_f16_e32 v90, 0x3482, v65
	v_add_f16_e32 v3, v4, v3
	v_fma_f16 v4, v45, s21, v86
	v_fma_f16 v91, v64, s16, v90
	v_add_f16_e32 v3, v4, v3
	v_fma_f16 v4, v27, s18, -v87
	v_add_f16_e32 v88, v91, v88
	v_mul_f16_e32 v91, 0x3beb, v68
	v_add_f16_e32 v0, v5, v0
	v_add_f16_e32 v4, v21, v4
	v_fma_f16 v5, v61, s2, -v89
	v_fma_f16 v92, v67, s6, v91
	v_add_f16_e32 v4, v5, v4
	v_fma_f16 v5, v64, s16, -v90
	v_add_f16_e32 v88, v92, v88
	v_mul_f16_e32 v92, 0x3853, v71
	v_add_f16_e32 v4, v5, v4
	v_fma_f16 v5, v67, s6, -v91
	v_mul_f16_e32 v22, 0x3abb, v22
	v_add_f16_e32 v4, v5, v4
	v_fma_f16 v5, v70, s7, -v92
	v_fma_f16 v93, v70, s7, v92
	v_mul_f16_e32 v20, 0x36a6, v20
	v_add_f16_e32 v4, v5, v4
	v_fma_f16 v5, v48, s15, v22
	v_add_f16_e32 v88, v93, v88
	v_fma_f16 v93, v48, s21, v22
	v_mul_f16_e32 v19, 0xb08e, v19
	v_add_f16_e32 v0, v6, v0
	v_add_f16_e32 v5, v39, v5
	v_fma_f16 v6, v52, s22, v20
	v_add_f16_e32 v93, v39, v93
	v_fma_f16 v94, v52, s19, v20
	v_mul_f16_e32 v23, 0xb93d, v23
	v_add_f16_e32 v38, v21, v38
	v_add_f16_e32 v5, v6, v5
	v_fma_f16 v6, v56, s20, v19
	v_add_f16_e32 v93, v94, v93
	v_fma_f16 v94, v56, s14, v19
	v_mul_f16_e32 v24, 0xbbad, v24
	v_add_f16_e32 v38, v50, v38
	v_add_f16_e32 v5, v6, v5
	v_fma_f16 v6, v55, s3, v23
	v_add_f16_e32 v93, v94, v93
	v_fma_f16 v94, v55, s23, v23
	v_mul_f16_e32 v40, 0xb853, v40
	v_add_f16_e32 v38, v44, v38
	v_add_f16_e32 v5, v6, v5
	v_fma_f16 v6, v45, s17, v24
	v_add_f16_e32 v93, v94, v93
	v_fma_f16 v94, v45, s24, v24
	v_mul_f16_e32 v62, 0xbb47, v62
	v_add_f16_e32 v26, v26, v38
	v_add_f16_e32 v5, v6, v5
	v_fma_f16 v6, v27, s7, -v40
	v_add_f16_e32 v93, v94, v93
	v_fma_f16 v94, v27, s7, v40
	v_mul_f16_e32 v65, 0xbbeb, v65
	v_add_f16_e32 v26, v28, v26
	v_add_f16_e32 v0, v7, v0
	;; [unrolled: 1-line block ×3, first 2 shown]
	v_fma_f16 v7, v61, s18, -v62
	v_add_f16_e32 v94, v21, v94
	v_fma_f16 v95, v61, s18, v62
	v_mul_f16_e32 v68, 0xba0c, v68
	v_add_f16_e32 v26, v41, v26
	v_add_f16_e32 v6, v7, v6
	v_fma_f16 v7, v64, s6, -v65
	v_add_f16_e32 v94, v95, v94
	v_fma_f16 v95, v64, s6, v65
	v_mul_f16_e32 v71, 0xb482, v71
	v_add_f16_e32 v26, v42, v26
	v_add_f16_e32 v6, v7, v6
	v_fma_f16 v7, v67, s2, -v68
	v_add_f16_e32 v94, v95, v94
	v_fma_f16 v95, v67, s2, v68
	v_add_f16_e32 v26, v47, v26
	v_add_f16_e32 v6, v7, v6
	v_fma_f16 v7, v70, s16, -v71
	v_add_f16_e32 v94, v95, v94
	v_fma_f16 v95, v70, s16, v71
	v_add_f16_e32 v26, v51, v26
	v_add_f16_e32 v0, v15, v0
	;; [unrolled: 1-line block ×3, first 2 shown]
	v_mul_u32_u24_e32 v7, 0xb0, v54
	v_add_f16_e32 v94, v95, v94
	v_add_f16_e32 v26, v46, v26
	;; [unrolled: 1-line block ×3, first 2 shown]
	v_or_b32_e32 v7, v7, v37
	v_lshlrev_b32_e32 v7, 2, v7
	v_pack_b32_f16 v0, v26, v0
	v_pack_b32_f16 v15, v94, v93
	ds_write2_b32 v7, v0, v15 offset1:16
	v_pack_b32_f16 v0, v88, v82
	v_pack_b32_f16 v15, v72, v57
	ds_write2_b32 v7, v0, v15 offset0:32 offset1:48
	v_pack_b32_f16 v0, v43, v49
	v_pack_b32_f16 v15, v75, v73
	ds_write2_b32 v7, v0, v15 offset0:64 offset1:80
	;; [unrolled: 3-line block ×4, first 2 shown]
	v_pack_b32_f16 v0, v6, v5
	ds_write_b32 v7, v0 offset:640
.LBB0_45:
	s_or_b64 exec, exec, s[4:5]
	s_waitcnt lgkmcnt(0)
	s_barrier
	ds_read2_b32 v[0:1], v29 offset1:176
	v_add_u32_e32 v6, 0x500, v29
	ds_read2_b32 v[2:3], v6 offset0:32 offset1:208
	v_add_u32_e32 v7, 0xa00, v29
	ds_read2_b32 v[4:5], v7 offset0:64 offset1:240
	s_waitcnt lgkmcnt(2)
	v_lshrrev_b32_e32 v15, 16, v1
	v_mul_f16_sdwa v24, v8, v15 dst_sel:DWORD dst_unused:UNUSED_PAD src0_sel:WORD_1 src1_sel:DWORD
	s_waitcnt lgkmcnt(1)
	v_lshrrev_b32_e32 v19, 16, v2
	v_fma_f16 v24, v8, v1, v24
	v_mul_f16_sdwa v1, v8, v1 dst_sel:DWORD dst_unused:UNUSED_PAD src0_sel:WORD_1 src1_sel:DWORD
	ds_read_b32 v16, v29 offset:4224
	v_fma_f16 v1, v8, v15, -v1
	v_mul_f16_sdwa v8, v9, v19 dst_sel:DWORD dst_unused:UNUSED_PAD src0_sel:WORD_1 src1_sel:DWORD
	v_lshrrev_b32_e32 v20, 16, v3
	v_fma_f16 v8, v9, v2, v8
	v_mul_f16_sdwa v2, v9, v2 dst_sel:DWORD dst_unused:UNUSED_PAD src0_sel:WORD_1 src1_sel:DWORD
	v_fma_f16 v2, v9, v19, -v2
	v_mul_f16_sdwa v9, v10, v20 dst_sel:DWORD dst_unused:UNUSED_PAD src0_sel:WORD_1 src1_sel:DWORD
	s_waitcnt lgkmcnt(1)
	v_lshrrev_b32_e32 v21, 16, v4
	v_fma_f16 v9, v10, v3, v9
	v_mul_f16_sdwa v3, v10, v3 dst_sel:DWORD dst_unused:UNUSED_PAD src0_sel:WORD_1 src1_sel:DWORD
	v_fma_f16 v3, v10, v20, -v3
	v_mul_f16_sdwa v10, v11, v21 dst_sel:DWORD dst_unused:UNUSED_PAD src0_sel:WORD_1 src1_sel:DWORD
	v_lshrrev_b32_e32 v22, 16, v5
	s_waitcnt lgkmcnt(0)
	v_lshrrev_b32_e32 v23, 16, v16
	v_fma_f16 v10, v11, v4, v10
	v_mul_f16_sdwa v4, v11, v4 dst_sel:DWORD dst_unused:UNUSED_PAD src0_sel:WORD_1 src1_sel:DWORD
	v_fma_f16 v4, v11, v21, -v4
	v_mul_f16_sdwa v11, v17, v22 dst_sel:DWORD dst_unused:UNUSED_PAD src0_sel:WORD_1 src1_sel:DWORD
	v_mul_f16_sdwa v15, v18, v23 dst_sel:DWORD dst_unused:UNUSED_PAD src0_sel:WORD_1 src1_sel:DWORD
	v_fma_f16 v11, v17, v5, v11
	v_mul_f16_sdwa v5, v17, v5 dst_sel:DWORD dst_unused:UNUSED_PAD src0_sel:WORD_1 src1_sel:DWORD
	v_fma_f16 v15, v18, v16, v15
	v_mul_f16_sdwa v16, v18, v16 dst_sel:DWORD dst_unused:UNUSED_PAD src0_sel:WORD_1 src1_sel:DWORD
	v_fma_f16 v5, v17, v22, -v5
	v_fma_f16 v16, v18, v23, -v16
	v_add_f16_e32 v17, v24, v15
	v_add_f16_e32 v18, v1, v16
	v_sub_f16_e32 v1, v1, v16
	v_add_f16_e32 v16, v8, v11
	v_add_f16_e32 v19, v2, v5
	v_sub_f16_e32 v8, v8, v11
	v_sub_f16_e32 v2, v2, v5
	v_add_f16_e32 v5, v9, v10
	v_add_f16_e32 v11, v3, v4
	v_sub_f16_e32 v9, v10, v9
	v_sub_f16_e32 v15, v24, v15
	;; [unrolled: 1-line block ×3, first 2 shown]
	v_add_f16_e32 v4, v16, v17
	v_add_f16_e32 v10, v19, v18
	v_sub_f16_e32 v20, v16, v17
	v_sub_f16_e32 v21, v19, v18
	;; [unrolled: 1-line block ×4, first 2 shown]
	v_add_f16_e32 v22, v9, v8
	v_sub_f16_e32 v16, v5, v16
	v_sub_f16_e32 v19, v11, v19
	;; [unrolled: 1-line block ×5, first 2 shown]
	v_add_f16_e32 v4, v5, v4
	v_add_f16_e32 v5, v11, v10
	;; [unrolled: 1-line block ×3, first 2 shown]
	v_mul_f16_e32 v15, 0x3a52, v17
	v_mul_f16_e32 v17, 0x3a52, v18
	s_movk_i32 s2, 0x2b26
	v_mul_f16_e32 v18, 0x2b26, v16
	v_mul_f16_e32 v22, 0x2b26, v19
	v_fma_f16 v16, v16, s2, v15
	v_fma_f16 v19, v19, s2, v17
	s_movk_i32 s2, 0x39e0
	v_add_f16_e32 v23, v3, v2
	v_sub_f16_e32 v25, v3, v2
	v_fma_f16 v18, v20, s2, -v18
	v_fma_f16 v22, v21, s2, -v22
	s_mov_b32 s2, 0xb9e0
	v_sub_f16_e32 v3, v1, v3
	v_sub_f16_e32 v2, v2, v1
	v_add_f16_e32 v1, v23, v1
	v_mul_f16_e32 v23, 0x3846, v24
	v_mul_f16_e32 v24, 0x3846, v25
	v_fma_f16 v15, v20, s2, -v15
	v_fma_f16 v17, v21, s2, -v17
	s_mov_b32 s2, 0xb574
	v_add_f16_e32 v11, v0, v4
	v_add_f16_sdwa v0, v0, v5 dst_sel:DWORD dst_unused:UNUSED_PAD src0_sel:WORD_1 src1_sel:DWORD
	v_mul_f16_e32 v25, 0xbb00, v8
	v_mul_f16_e32 v26, 0xbb00, v2
	s_mov_b32 s4, 0xbcab
	v_fma_f16 v20, v9, s2, v23
	v_fma_f16 v21, v3, s2, v24
	s_movk_i32 s2, 0x3574
	s_mov_b32 s3, 0xbb00
	v_fma_f16 v4, v4, s4, v11
	v_fma_f16 v5, v5, s4, v0
	v_fma_f16 v9, v9, s2, -v25
	v_fma_f16 v3, v3, s2, -v26
	s_mov_b32 s2, 0xb70e
	v_fma_f16 v8, v8, s3, -v23
	v_fma_f16 v2, v2, s3, -v24
	v_add_f16_e32 v16, v16, v4
	v_add_f16_e32 v19, v19, v5
	;; [unrolled: 1-line block ×6, first 2 shown]
	v_fma_f16 v15, v10, s2, v20
	v_fma_f16 v17, v1, s2, v21
	;; [unrolled: 1-line block ×6, first 2 shown]
	v_add_f16_e32 v3, v17, v16
	v_sub_f16_e32 v10, v19, v15
	v_add_f16_e32 v20, v1, v4
	v_sub_f16_e32 v21, v5, v9
	v_sub_f16_e32 v23, v18, v2
	v_add_f16_e32 v24, v8, v22
	v_pack_b32_f16 v0, v11, v0
	v_pack_b32_f16 v3, v3, v10
	v_add_f16_e32 v2, v2, v18
	v_sub_f16_e32 v8, v22, v8
	v_sub_f16_e32 v1, v4, v1
	v_add_f16_e32 v4, v9, v5
	ds_write2_b32 v29, v0, v3 offset1:176
	v_pack_b32_f16 v0, v20, v21
	v_pack_b32_f16 v3, v23, v24
	v_sub_f16_e32 v5, v16, v17
	v_add_f16_e32 v9, v15, v19
	ds_write2_b32 v6, v0, v3 offset0:32 offset1:208
	v_pack_b32_f16 v0, v2, v8
	v_pack_b32_f16 v1, v1, v4
	ds_write2_b32 v7, v0, v1 offset0:64 offset1:240
	v_pack_b32_f16 v0, v5, v9
	ds_write_b32 v29, v0 offset:4224
	s_waitcnt lgkmcnt(0)
	s_barrier
	ds_read2_b32 v[0:1], v29 offset1:176
	s_mov_b32 s6, 0x606a63be
	s_mov_b32 s7, 0x3f4a98ef
	v_mad_u64_u32 v[3:4], s[2:3], s10, v14, 0
	s_waitcnt lgkmcnt(0)
	v_lshrrev_b32_e32 v9, 16, v0
	v_mul_f16_sdwa v2, v36, v9 dst_sel:DWORD dst_unused:UNUSED_PAD src0_sel:WORD_1 src1_sel:DWORD
	v_fma_f16 v2, v36, v0, v2
	v_cvt_f32_f16_e32 v2, v2
	s_movk_i32 s14, 0x1ff
	s_movk_i32 s15, 0xffe
	v_mul_f16_sdwa v0, v36, v0 dst_sel:DWORD dst_unused:UNUSED_PAD src0_sel:WORD_1 src1_sel:DWORD
	v_cvt_f64_f32_e32 v[5:6], v2
	v_mov_b32_e32 v2, v4
	v_mad_u64_u32 v[7:8], s[2:3], s11, v14, v[2:3]
	v_mul_f64 v[5:6], v[5:6], s[6:7]
	v_fma_f16 v0, v36, v9, -v0
	v_mov_b32_e32 v4, v7
	v_cvt_f32_f16_e32 v0, v0
	s_movk_i32 s16, 0x40f
	s_mov_b32 s17, 0x8000
	v_lshlrev_b64 v[3:4], 2, v[3:4]
	s_movk_i32 s18, 0x1000
	v_and_or_b32 v2, v6, s14, v5
	v_cmp_ne_u32_e32 vcc, 0, v2
	v_cndmask_b32_e64 v2, 0, 1, vcc
	v_lshrrev_b32_e32 v5, 8, v6
	v_bfe_u32 v7, v6, 20, 11
	v_and_or_b32 v5, v5, s15, v2
	v_sub_u32_e32 v8, 0x3f1, v7
	v_or_b32_e32 v2, 0x1000, v5
	v_med3_i32 v8, v8, 0, 13
	v_lshrrev_b32_e32 v10, v8, v2
	v_lshlrev_b32_e32 v8, v8, v10
	v_cmp_ne_u32_e32 vcc, v8, v2
	v_cndmask_b32_e64 v2, 0, 1, vcc
	v_or_b32_e32 v2, v10, v2
	v_add_u32_e32 v10, 0xfffffc10, v7
	v_lshl_or_b32 v7, v10, 12, v5
	v_cmp_gt_i32_e32 vcc, 1, v10
	v_cndmask_b32_e32 v2, v7, v2, vcc
	v_and_b32_e32 v7, 7, v2
	v_cmp_lt_i32_e32 vcc, 5, v7
	v_cmp_eq_u32_e64 s[2:3], 3, v7
	v_cvt_f64_f32_e32 v[7:8], v0
	v_lshrrev_b32_e32 v2, 2, v2
	s_or_b64 vcc, s[2:3], vcc
	v_addc_co_u32_e32 v9, vcc, 0, v2, vcc
	v_mul_f64 v[7:8], v[7:8], s[6:7]
	v_mov_b32_e32 v2, 0x7c00
	v_cmp_gt_i32_e32 vcc, 31, v10
	v_cndmask_b32_e32 v0, v2, v9, vcc
	v_cmp_ne_u32_e32 vcc, 0, v5
	v_cndmask_b32_e64 v5, 0, 1, vcc
	v_lshl_or_b32 v5, v5, 9, v2
	v_cmp_eq_u32_e32 vcc, s16, v10
	v_cndmask_b32_e32 v0, v0, v5, vcc
	v_lshrrev_b32_e32 v5, 16, v6
	v_and_or_b32 v11, v5, s17, v0
	v_and_or_b32 v0, v8, s14, v7
	v_cmp_ne_u32_e32 vcc, 0, v0
	v_cndmask_b32_e64 v0, 0, 1, vcc
	v_lshrrev_b32_e32 v5, 8, v8
	v_bfe_u32 v6, v8, 20, 11
	v_and_or_b32 v0, v5, s15, v0
	v_sub_u32_e32 v7, 0x3f1, v6
	v_or_b32_e32 v5, 0x1000, v0
	v_med3_i32 v7, v7, 0, 13
	v_lshrrev_b32_e32 v9, v7, v5
	v_lshlrev_b32_e32 v7, v7, v9
	v_cmp_ne_u32_e32 vcc, v7, v5
	v_cndmask_b32_e64 v5, 0, 1, vcc
	v_add_u32_e32 v6, 0xfffffc10, v6
	v_or_b32_e32 v5, v9, v5
	v_lshl_or_b32 v7, v6, 12, v0
	v_cmp_gt_i32_e32 vcc, 1, v6
	v_cndmask_b32_e32 v5, v7, v5, vcc
	v_and_b32_e32 v7, 7, v5
	v_cmp_lt_i32_e32 vcc, 5, v7
	v_cmp_eq_u32_e64 s[2:3], 3, v7
	v_lshrrev_b32_e32 v5, 2, v5
	s_or_b64 vcc, s[2:3], vcc
	v_addc_co_u32_e32 v5, vcc, 0, v5, vcc
	v_cmp_gt_i32_e32 vcc, 31, v6
	v_cndmask_b32_e32 v5, v2, v5, vcc
	v_cmp_ne_u32_e32 vcc, 0, v0
	v_cndmask_b32_e64 v0, 0, 1, vcc
	v_lshl_or_b32 v0, v0, 9, v2
	v_cmp_eq_u32_e32 vcc, s16, v6
	v_cndmask_b32_e32 v14, v5, v0, vcc
	v_add_u32_e32 v0, 0x900, v29
	v_mad_u64_u32 v[5:6], s[2:3], s8, v34, 0
	ds_read2_b32 v[9:10], v0 offset0:40 offset1:216
	v_lshrrev_b32_e32 v8, 16, v8
	v_mov_b32_e32 v0, v6
	v_mad_u64_u32 v[6:7], s[2:3], s9, v34, v[0:1]
	s_waitcnt lgkmcnt(0)
	v_lshrrev_b32_e32 v0, 16, v9
	v_mul_f16_sdwa v7, v35, v0 dst_sel:DWORD dst_unused:UNUSED_PAD src0_sel:WORD_1 src1_sel:DWORD
	v_fma_f16 v7, v35, v9, v7
	v_cvt_f32_f16_e32 v7, v7
	v_and_or_b32 v14, v8, s17, v14
	v_and_b32_e32 v11, 0xffff, v11
	v_lshl_or_b32 v11, v14, 16, v11
	v_cvt_f64_f32_e32 v[7:8], v7
	v_mov_b32_e32 v14, s13
	v_add_co_u32_e32 v15, vcc, s12, v3
	v_mul_f64 v[7:8], v[7:8], s[6:7]
	v_addc_co_u32_e32 v14, vcc, v14, v4, vcc
	v_lshlrev_b64 v[3:4], 2, v[5:6]
	v_mul_f16_sdwa v9, v35, v9 dst_sel:DWORD dst_unused:UNUSED_PAD src0_sel:WORD_1 src1_sel:DWORD
	v_add_co_u32_e32 v3, vcc, v15, v3
	v_addc_co_u32_e32 v4, vcc, v14, v4, vcc
	v_and_or_b32 v5, v8, s14, v7
	v_cmp_ne_u32_e32 vcc, 0, v5
	v_cndmask_b32_e64 v5, 0, 1, vcc
	v_lshrrev_b32_e32 v6, 8, v8
	v_and_or_b32 v7, v6, s15, v5
	v_bfe_u32 v6, v8, 20, 11
	global_store_dword v[3:4], v11, off
	v_sub_u32_e32 v11, 0x3f1, v6
	v_or_b32_e32 v5, 0x1000, v7
	v_med3_i32 v11, v11, 0, 13
	v_lshrrev_b32_e32 v14, v11, v5
	v_lshlrev_b32_e32 v11, v11, v14
	v_cmp_ne_u32_e32 vcc, v11, v5
	v_fma_f16 v0, v35, v0, -v9
	v_cndmask_b32_e64 v5, 0, 1, vcc
	v_add_u32_e32 v11, 0xfffffc10, v6
	v_cvt_f32_f16_e32 v0, v0
	v_or_b32_e32 v5, v14, v5
	v_lshl_or_b32 v6, v11, 12, v7
	v_cmp_gt_i32_e32 vcc, 1, v11
	v_cndmask_b32_e32 v5, v6, v5, vcc
	v_and_b32_e32 v6, 7, v5
	v_cmp_lt_i32_e32 vcc, 5, v6
	v_cmp_eq_u32_e64 s[2:3], 3, v6
	v_lshrrev_b32_e32 v9, 2, v5
	v_cvt_f64_f32_e32 v[5:6], v0
	s_or_b64 vcc, s[2:3], vcc
	v_addc_co_u32_e32 v0, vcc, 0, v9, vcc
	v_mul_f64 v[5:6], v[5:6], s[6:7]
	v_cmp_gt_i32_e32 vcc, 31, v11
	v_cndmask_b32_e32 v0, v2, v0, vcc
	v_cmp_ne_u32_e32 vcc, 0, v7
	v_cndmask_b32_e64 v7, 0, 1, vcc
	v_lshl_or_b32 v7, v7, 9, v2
	v_cmp_eq_u32_e32 vcc, s16, v11
	v_cndmask_b32_e32 v0, v0, v7, vcc
	v_and_or_b32 v5, v6, s14, v5
	v_lshrrev_b32_e32 v7, 16, v8
	v_cmp_ne_u32_e32 vcc, 0, v5
	v_and_or_b32 v0, v7, s17, v0
	v_cndmask_b32_e64 v5, 0, 1, vcc
	v_lshrrev_b32_e32 v7, 8, v6
	v_bfe_u32 v8, v6, 20, 11
	v_and_or_b32 v5, v7, s15, v5
	v_sub_u32_e32 v9, 0x3f1, v8
	v_or_b32_e32 v7, 0x1000, v5
	v_med3_i32 v9, v9, 0, 13
	v_lshrrev_b32_e32 v11, v9, v7
	v_lshlrev_b32_e32 v9, v9, v11
	v_cmp_ne_u32_e32 vcc, v9, v7
	v_cndmask_b32_e64 v7, 0, 1, vcc
	v_add_u32_e32 v8, 0xfffffc10, v8
	v_or_b32_e32 v7, v11, v7
	v_lshl_or_b32 v9, v8, 12, v5
	v_cmp_gt_i32_e32 vcc, 1, v8
	v_cndmask_b32_e32 v7, v9, v7, vcc
	v_and_b32_e32 v9, 7, v7
	v_cmp_lt_i32_e32 vcc, 5, v9
	v_cmp_eq_u32_e64 s[2:3], 3, v9
	v_lshrrev_b32_e32 v7, 2, v7
	s_or_b64 vcc, s[2:3], vcc
	v_addc_co_u32_e32 v7, vcc, 0, v7, vcc
	v_cmp_gt_i32_e32 vcc, 31, v8
	v_cndmask_b32_e32 v7, v2, v7, vcc
	v_cmp_ne_u32_e32 vcc, 0, v5
	v_cndmask_b32_e64 v5, 0, 1, vcc
	v_lshl_or_b32 v5, v5, 9, v2
	v_cmp_eq_u32_e32 vcc, s16, v8
	v_cndmask_b32_e32 v5, v7, v5, vcc
	v_lshrrev_b32_e32 v6, 16, v6
	v_lshrrev_b32_e32 v8, 16, v1
	v_and_or_b32 v7, v6, s17, v5
	v_mul_f16_sdwa v5, v33, v8 dst_sel:DWORD dst_unused:UNUSED_PAD src0_sel:WORD_1 src1_sel:DWORD
	v_fma_f16 v5, v33, v1, v5
	v_cvt_f32_f16_e32 v5, v5
	s_mul_i32 s2, s9, 0x268
	s_mul_hi_u32 s3, s8, 0x268
	s_add_i32 s3, s3, s2
	v_cvt_f64_f32_e32 v[5:6], v5
	s_mul_i32 s2, s8, 0x268
	v_and_b32_e32 v0, 0xffff, v0
	s_lshl_b64 s[10:11], s[2:3], 2
	v_mul_f64 v[5:6], v[5:6], s[6:7]
	v_lshl_or_b32 v0, v7, 16, v0
	v_mov_b32_e32 v7, s11
	v_add_co_u32_e32 v3, vcc, s10, v3
	v_addc_co_u32_e32 v4, vcc, v4, v7, vcc
	global_store_dword v[3:4], v0, off
	v_and_or_b32 v0, v6, s14, v5
	v_cmp_ne_u32_e32 vcc, 0, v0
	v_cndmask_b32_e64 v0, 0, 1, vcc
	v_lshrrev_b32_e32 v5, 8, v6
	v_bfe_u32 v9, v6, 20, 11
	v_and_or_b32 v5, v5, s15, v0
	v_sub_u32_e32 v11, 0x3f1, v9
	v_or_b32_e32 v0, 0x1000, v5
	v_med3_i32 v11, v11, 0, 13
	v_lshrrev_b32_e32 v14, v11, v0
	v_mul_f16_sdwa v1, v33, v1 dst_sel:DWORD dst_unused:UNUSED_PAD src0_sel:WORD_1 src1_sel:DWORD
	v_lshlrev_b32_e32 v11, v11, v14
	v_fma_f16 v1, v33, v8, -v1
	v_cmp_ne_u32_e32 vcc, v11, v0
	v_cvt_f32_f16_e32 v1, v1
	v_cndmask_b32_e64 v0, 0, 1, vcc
	v_add_u32_e32 v9, 0xfffffc10, v9
	v_or_b32_e32 v0, v14, v0
	v_lshl_or_b32 v11, v9, 12, v5
	v_cmp_gt_i32_e32 vcc, 1, v9
	v_cndmask_b32_e32 v0, v11, v0, vcc
	v_and_b32_e32 v11, 7, v0
	v_lshrrev_b32_e32 v8, 2, v0
	v_cvt_f64_f32_e32 v[0:1], v1
	v_cmp_lt_i32_e32 vcc, 5, v11
	v_cmp_eq_u32_e64 s[2:3], 3, v11
	s_or_b64 vcc, s[2:3], vcc
	v_mul_f64 v[0:1], v[0:1], s[6:7]
	v_addc_co_u32_e32 v8, vcc, 0, v8, vcc
	v_cmp_gt_i32_e32 vcc, 31, v9
	v_cndmask_b32_e32 v8, v2, v8, vcc
	v_cmp_ne_u32_e32 vcc, 0, v5
	v_cndmask_b32_e64 v5, 0, 1, vcc
	v_lshl_or_b32 v5, v5, 9, v2
	v_cmp_eq_u32_e32 vcc, s16, v9
	v_and_or_b32 v0, v1, s14, v0
	v_cndmask_b32_e32 v5, v8, v5, vcc
	v_lshrrev_b32_e32 v6, 16, v6
	v_cmp_ne_u32_e32 vcc, 0, v0
	v_and_or_b32 v5, v6, s17, v5
	v_cndmask_b32_e64 v0, 0, 1, vcc
	v_lshrrev_b32_e32 v6, 8, v1
	v_bfe_u32 v8, v1, 20, 11
	v_and_or_b32 v0, v6, s15, v0
	v_sub_u32_e32 v9, 0x3f1, v8
	v_or_b32_e32 v6, 0x1000, v0
	v_med3_i32 v9, v9, 0, 13
	v_lshrrev_b32_e32 v11, v9, v6
	v_lshlrev_b32_e32 v9, v9, v11
	v_cmp_ne_u32_e32 vcc, v9, v6
	v_cndmask_b32_e64 v6, 0, 1, vcc
	v_add_u32_e32 v8, 0xfffffc10, v8
	v_or_b32_e32 v6, v11, v6
	v_lshl_or_b32 v9, v8, 12, v0
	v_cmp_gt_i32_e32 vcc, 1, v8
	v_cndmask_b32_e32 v6, v9, v6, vcc
	v_and_b32_e32 v9, 7, v6
	v_cmp_lt_i32_e32 vcc, 5, v9
	v_cmp_eq_u32_e64 s[2:3], 3, v9
	v_lshrrev_b32_e32 v6, 2, v6
	s_or_b64 vcc, s[2:3], vcc
	v_addc_co_u32_e32 v6, vcc, 0, v6, vcc
	v_cmp_gt_i32_e32 vcc, 31, v8
	v_cndmask_b32_e32 v6, v2, v6, vcc
	v_cmp_ne_u32_e32 vcc, 0, v0
	v_cndmask_b32_e64 v0, 0, 1, vcc
	v_lshl_or_b32 v0, v0, 9, v2
	v_cmp_eq_u32_e32 vcc, s16, v8
	v_cndmask_b32_e32 v0, v6, v0, vcc
	v_lshrrev_b32_e32 v1, 16, v1
	v_lshrrev_b32_e32 v8, 16, v10
	v_and_or_b32 v6, v1, s17, v0
	v_mul_f16_sdwa v0, v32, v8 dst_sel:DWORD dst_unused:UNUSED_PAD src0_sel:WORD_1 src1_sel:DWORD
	v_fma_f16 v0, v32, v10, v0
	v_cvt_f32_f16_e32 v0, v0
	s_mul_hi_u32 s3, s8, 0xfffffe48
	s_mul_i32 s2, s9, 0xfffffe48
	s_sub_i32 s3, s3, s8
	v_cvt_f64_f32_e32 v[0:1], v0
	s_add_i32 s3, s3, s2
	s_mul_i32 s2, s8, 0xfffffe48
	s_lshl_b64 s[4:5], s[2:3], 2
	v_mul_f64 v[0:1], v[0:1], s[6:7]
	v_mov_b32_e32 v9, s5
	v_add_co_u32_e32 v3, vcc, s4, v3
	v_and_b32_e32 v5, 0xffff, v5
	v_addc_co_u32_e32 v4, vcc, v4, v9, vcc
	v_lshl_or_b32 v5, v6, 16, v5
	v_and_or_b32 v0, v1, s14, v0
	v_cmp_ne_u32_e32 vcc, 0, v0
	global_store_dword v[3:4], v5, off
	v_cndmask_b32_e64 v0, 0, 1, vcc
	v_lshrrev_b32_e32 v5, 8, v1
	v_bfe_u32 v6, v1, 20, 11
	v_and_or_b32 v0, v5, s15, v0
	v_sub_u32_e32 v11, 0x3f1, v6
	v_or_b32_e32 v5, 0x1000, v0
	v_med3_i32 v11, v11, 0, 13
	v_lshrrev_b32_e32 v14, v11, v5
	v_lshlrev_b32_e32 v11, v11, v14
	v_mul_f16_sdwa v10, v32, v10 dst_sel:DWORD dst_unused:UNUSED_PAD src0_sel:WORD_1 src1_sel:DWORD
	v_cmp_ne_u32_e32 vcc, v11, v5
	v_fma_f16 v8, v32, v8, -v10
	v_cndmask_b32_e64 v5, 0, 1, vcc
	v_add_u32_e32 v11, 0xfffffc10, v6
	v_cvt_f32_f16_e32 v8, v8
	v_or_b32_e32 v5, v14, v5
	v_lshl_or_b32 v6, v11, 12, v0
	v_cmp_gt_i32_e32 vcc, 1, v11
	v_cndmask_b32_e32 v5, v6, v5, vcc
	v_and_b32_e32 v6, 7, v5
	v_cmp_lt_i32_e32 vcc, 5, v6
	v_cmp_eq_u32_e64 s[2:3], 3, v6
	v_lshrrev_b32_e32 v10, 2, v5
	v_cvt_f64_f32_e32 v[5:6], v8
	s_or_b64 vcc, s[2:3], vcc
	v_addc_co_u32_e32 v8, vcc, 0, v10, vcc
	v_mul_f64 v[5:6], v[5:6], s[6:7]
	v_cmp_gt_i32_e32 vcc, 31, v11
	v_cndmask_b32_e32 v8, v2, v8, vcc
	v_cmp_ne_u32_e32 vcc, 0, v0
	v_cndmask_b32_e64 v0, 0, 1, vcc
	v_lshl_or_b32 v0, v0, 9, v2
	v_cmp_eq_u32_e32 vcc, s16, v11
	v_cndmask_b32_e32 v0, v8, v0, vcc
	v_lshrrev_b32_e32 v1, 16, v1
	v_and_or_b32 v8, v1, s17, v0
	v_and_or_b32 v0, v6, s14, v5
	v_cmp_ne_u32_e32 vcc, 0, v0
	v_cndmask_b32_e64 v0, 0, 1, vcc
	v_lshrrev_b32_e32 v1, 8, v6
	v_bfe_u32 v5, v6, 20, 11
	v_and_or_b32 v0, v1, s15, v0
	v_sub_u32_e32 v10, 0x3f1, v5
	v_or_b32_e32 v1, 0x1000, v0
	v_med3_i32 v10, v10, 0, 13
	v_lshrrev_b32_e32 v11, v10, v1
	v_lshlrev_b32_e32 v10, v10, v11
	v_cmp_ne_u32_e32 vcc, v10, v1
	v_cndmask_b32_e64 v1, 0, 1, vcc
	v_add_u32_e32 v5, 0xfffffc10, v5
	v_or_b32_e32 v1, v11, v1
	v_lshl_or_b32 v10, v5, 12, v0
	v_cmp_gt_i32_e32 vcc, 1, v5
	v_cndmask_b32_e32 v1, v10, v1, vcc
	v_and_b32_e32 v10, 7, v1
	v_cmp_lt_i32_e32 vcc, 5, v10
	v_cmp_eq_u32_e64 s[2:3], 3, v10
	ds_read_b32 v10, v29 offset:1408
	ds_read_b32 v14, v29 offset:3872
	v_lshrrev_b32_e32 v1, 2, v1
	s_or_b64 vcc, s[2:3], vcc
	v_addc_co_u32_e32 v1, vcc, 0, v1, vcc
	v_cmp_gt_i32_e32 vcc, 31, v5
	s_waitcnt lgkmcnt(1)
	v_lshrrev_b32_e32 v15, 16, v10
	v_cndmask_b32_e32 v11, v2, v1, vcc
	v_mul_f16_sdwa v1, v31, v15 dst_sel:DWORD dst_unused:UNUSED_PAD src0_sel:WORD_1 src1_sel:DWORD
	v_fma_f16 v1, v31, v10, v1
	v_cvt_f32_f16_e32 v1, v1
	v_cmp_ne_u32_e32 vcc, 0, v0
	v_cndmask_b32_e64 v0, 0, 1, vcc
	v_lshl_or_b32 v16, v0, 9, v2
	v_cvt_f64_f32_e32 v[0:1], v1
	v_cmp_eq_u32_e32 vcc, s16, v5
	v_cndmask_b32_e32 v5, v11, v16, vcc
	v_lshrrev_b32_e32 v6, 16, v6
	v_mul_f64 v[0:1], v[0:1], s[6:7]
	v_add_co_u32_e32 v3, vcc, s10, v3
	v_and_or_b32 v5, v6, s17, v5
	v_and_b32_e32 v6, 0xffff, v8
	v_addc_co_u32_e32 v4, vcc, v4, v7, vcc
	v_lshl_or_b32 v5, v5, 16, v6
	v_and_or_b32 v0, v1, s14, v0
	v_cmp_ne_u32_e32 vcc, 0, v0
	global_store_dword v[3:4], v5, off
	v_cndmask_b32_e64 v0, 0, 1, vcc
	v_lshrrev_b32_e32 v5, 8, v1
	v_bfe_u32 v6, v1, 20, 11
	v_and_or_b32 v0, v5, s15, v0
	v_sub_u32_e32 v8, 0x3f1, v6
	v_or_b32_e32 v5, 0x1000, v0
	v_med3_i32 v8, v8, 0, 13
	v_lshrrev_b32_e32 v11, v8, v5
	v_lshlrev_b32_e32 v8, v8, v11
	v_mul_f16_sdwa v10, v31, v10 dst_sel:DWORD dst_unused:UNUSED_PAD src0_sel:WORD_1 src1_sel:DWORD
	v_cmp_ne_u32_e32 vcc, v8, v5
	v_fma_f16 v10, v31, v15, -v10
	v_cndmask_b32_e64 v5, 0, 1, vcc
	v_add_u32_e32 v8, 0xfffffc10, v6
	v_cvt_f32_f16_e32 v10, v10
	v_or_b32_e32 v5, v11, v5
	v_lshl_or_b32 v6, v8, 12, v0
	v_cmp_gt_i32_e32 vcc, 1, v8
	v_cndmask_b32_e32 v5, v6, v5, vcc
	v_and_b32_e32 v6, 7, v5
	v_cmp_lt_i32_e32 vcc, 5, v6
	v_cmp_eq_u32_e64 s[2:3], 3, v6
	v_lshrrev_b32_e32 v11, 2, v5
	v_cvt_f64_f32_e32 v[5:6], v10
	s_or_b64 vcc, s[2:3], vcc
	v_addc_co_u32_e32 v10, vcc, 0, v11, vcc
	v_mul_f64 v[5:6], v[5:6], s[6:7]
	v_cmp_gt_i32_e32 vcc, 31, v8
	v_cndmask_b32_e32 v10, v2, v10, vcc
	v_cmp_ne_u32_e32 vcc, 0, v0
	v_cndmask_b32_e64 v0, 0, 1, vcc
	v_lshl_or_b32 v0, v0, 9, v2
	v_cmp_eq_u32_e32 vcc, s16, v8
	v_cndmask_b32_e32 v0, v10, v0, vcc
	v_lshrrev_b32_e32 v1, 16, v1
	v_and_or_b32 v8, v1, s17, v0
	v_and_or_b32 v0, v6, s14, v5
	v_cmp_ne_u32_e32 vcc, 0, v0
	v_cndmask_b32_e64 v0, 0, 1, vcc
	v_lshrrev_b32_e32 v1, 8, v6
	v_bfe_u32 v5, v6, 20, 11
	v_and_or_b32 v0, v1, s15, v0
	v_sub_u32_e32 v10, 0x3f1, v5
	v_or_b32_e32 v1, 0x1000, v0
	v_med3_i32 v10, v10, 0, 13
	v_lshrrev_b32_e32 v11, v10, v1
	v_lshlrev_b32_e32 v10, v10, v11
	v_cmp_ne_u32_e32 vcc, v10, v1
	v_cndmask_b32_e64 v1, 0, 1, vcc
	v_add_u32_e32 v5, 0xfffffc10, v5
	v_or_b32_e32 v1, v11, v1
	v_lshl_or_b32 v10, v5, 12, v0
	v_cmp_gt_i32_e32 vcc, 1, v5
	v_cndmask_b32_e32 v1, v10, v1, vcc
	v_and_b32_e32 v10, 7, v1
	v_cmp_lt_i32_e32 vcc, 5, v10
	v_cmp_eq_u32_e64 s[2:3], 3, v10
	v_lshrrev_b32_e32 v1, 2, v1
	s_or_b64 vcc, s[2:3], vcc
	v_addc_co_u32_e32 v1, vcc, 0, v1, vcc
	v_cmp_gt_i32_e32 vcc, 31, v5
	s_waitcnt lgkmcnt(0)
	v_lshrrev_b32_e32 v11, 16, v14
	v_cndmask_b32_e32 v10, v2, v1, vcc
	v_mul_f16_sdwa v1, v30, v11 dst_sel:DWORD dst_unused:UNUSED_PAD src0_sel:WORD_1 src1_sel:DWORD
	v_fma_f16 v1, v30, v14, v1
	v_cvt_f32_f16_e32 v1, v1
	v_cmp_ne_u32_e32 vcc, 0, v0
	v_cndmask_b32_e64 v0, 0, 1, vcc
	v_lshl_or_b32 v15, v0, 9, v2
	v_cvt_f64_f32_e32 v[0:1], v1
	v_cmp_eq_u32_e32 vcc, s16, v5
	v_cndmask_b32_e32 v5, v10, v15, vcc
	v_lshrrev_b32_e32 v6, 16, v6
	v_mul_f64 v[0:1], v[0:1], s[6:7]
	v_add_co_u32_e32 v3, vcc, s4, v3
	v_and_or_b32 v5, v6, s17, v5
	v_and_b32_e32 v6, 0xffff, v8
	v_addc_co_u32_e32 v4, vcc, v4, v9, vcc
	v_lshl_or_b32 v5, v5, 16, v6
	v_and_or_b32 v0, v1, s14, v0
	v_cmp_ne_u32_e32 vcc, 0, v0
	global_store_dword v[3:4], v5, off
	v_cndmask_b32_e64 v0, 0, 1, vcc
	v_lshrrev_b32_e32 v5, 8, v1
	v_bfe_u32 v6, v1, 20, 11
	v_and_or_b32 v0, v5, s15, v0
	v_sub_u32_e32 v8, 0x3f1, v6
	v_or_b32_e32 v5, 0x1000, v0
	v_med3_i32 v8, v8, 0, 13
	v_lshrrev_b32_e32 v9, v8, v5
	v_lshlrev_b32_e32 v8, v8, v9
	v_cmp_ne_u32_e32 vcc, v8, v5
	v_cndmask_b32_e64 v5, 0, 1, vcc
	v_or_b32_e32 v5, v9, v5
	v_mul_f16_sdwa v9, v30, v14 dst_sel:DWORD dst_unused:UNUSED_PAD src0_sel:WORD_1 src1_sel:DWORD
	v_fma_f16 v9, v30, v11, -v9
	v_add_u32_e32 v8, 0xfffffc10, v6
	v_cvt_f32_f16_e32 v9, v9
	v_lshl_or_b32 v6, v8, 12, v0
	v_cmp_gt_i32_e32 vcc, 1, v8
	v_cndmask_b32_e32 v5, v6, v5, vcc
	v_and_b32_e32 v6, 7, v5
	v_cmp_lt_i32_e32 vcc, 5, v6
	v_cmp_eq_u32_e64 s[2:3], 3, v6
	v_lshrrev_b32_e32 v10, 2, v5
	v_cvt_f64_f32_e32 v[5:6], v9
	s_or_b64 vcc, s[2:3], vcc
	v_addc_co_u32_e32 v9, vcc, 0, v10, vcc
	v_mul_f64 v[5:6], v[5:6], s[6:7]
	v_cmp_gt_i32_e32 vcc, 31, v8
	v_cndmask_b32_e32 v9, v2, v9, vcc
	v_cmp_ne_u32_e32 vcc, 0, v0
	v_cndmask_b32_e64 v0, 0, 1, vcc
	v_lshl_or_b32 v0, v0, 9, v2
	v_cmp_eq_u32_e32 vcc, s16, v8
	v_cndmask_b32_e32 v0, v9, v0, vcc
	v_lshrrev_b32_e32 v1, 16, v1
	v_and_or_b32 v0, v1, s17, v0
	v_and_or_b32 v1, v6, s14, v5
	v_cmp_ne_u32_e32 vcc, 0, v1
	v_cndmask_b32_e64 v1, 0, 1, vcc
	v_lshrrev_b32_e32 v5, 8, v6
	v_bfe_u32 v8, v6, 20, 11
	v_and_or_b32 v1, v5, s15, v1
	v_sub_u32_e32 v9, 0x3f1, v8
	v_or_b32_e32 v5, 0x1000, v1
	v_med3_i32 v9, v9, 0, 13
	v_lshrrev_b32_e32 v10, v9, v5
	v_lshlrev_b32_e32 v9, v9, v10
	v_cmp_ne_u32_e32 vcc, v9, v5
	v_cndmask_b32_e64 v5, 0, 1, vcc
	v_add_u32_e32 v8, 0xfffffc10, v8
	v_or_b32_e32 v5, v10, v5
	v_lshl_or_b32 v9, v8, 12, v1
	v_cmp_gt_i32_e32 vcc, 1, v8
	v_cndmask_b32_e32 v5, v9, v5, vcc
	v_and_b32_e32 v9, 7, v5
	v_cmp_lt_i32_e32 vcc, 5, v9
	v_cmp_eq_u32_e64 s[2:3], 3, v9
	v_lshrrev_b32_e32 v5, 2, v5
	s_or_b64 vcc, s[2:3], vcc
	v_addc_co_u32_e32 v5, vcc, 0, v5, vcc
	v_cmp_gt_i32_e32 vcc, 31, v8
	v_cndmask_b32_e32 v5, v2, v5, vcc
	v_cmp_ne_u32_e32 vcc, 0, v1
	v_cndmask_b32_e64 v1, 0, 1, vcc
	v_lshl_or_b32 v1, v1, 9, v2
	v_cmp_eq_u32_e32 vcc, s16, v8
	v_cndmask_b32_e32 v1, v5, v1, vcc
	v_lshrrev_b32_e32 v5, 16, v6
	v_and_or_b32 v1, v5, s17, v1
	v_and_b32_e32 v0, 0xffff, v0
	v_lshl_or_b32 v5, v1, 16, v0
	v_add_co_u32_e32 v0, vcc, s10, v3
	v_addc_co_u32_e32 v1, vcc, v4, v7, vcc
	global_store_dword v[0:1], v5, off
	s_and_b64 exec, exec, s[0:1]
	s_cbranch_execz .LBB0_47
; %bb.46:
	global_load_dword v5, v[12:13], off offset:2112
	v_add_co_u32_e32 v3, vcc, s18, v12
	v_addc_co_u32_e32 v4, vcc, 0, v13, vcc
	global_load_dword v9, v[3:4], off offset:480
	ds_read_b32 v3, v29 offset:2112
	ds_read_b32 v10, v29 offset:4576
	v_mov_b32_e32 v12, s5
	v_add_co_u32_e32 v0, vcc, s4, v0
	s_waitcnt lgkmcnt(1)
	v_lshrrev_b32_e32 v4, 16, v3
	s_waitcnt lgkmcnt(0)
	v_lshrrev_b32_e32 v11, 16, v10
	v_addc_co_u32_e32 v1, vcc, v1, v12, vcc
	s_waitcnt vmcnt(1)
	v_mul_f16_sdwa v6, v4, v5 dst_sel:DWORD dst_unused:UNUSED_PAD src0_sel:DWORD src1_sel:WORD_1
	v_mul_f16_sdwa v7, v3, v5 dst_sel:DWORD dst_unused:UNUSED_PAD src0_sel:DWORD src1_sel:WORD_1
	v_fma_f16 v3, v3, v5, v6
	v_fma_f16 v4, v5, v4, -v7
	v_cvt_f32_f16_e32 v3, v3
	s_waitcnt vmcnt(0)
	v_mul_f16_sdwa v5, v11, v9 dst_sel:DWORD dst_unused:UNUSED_PAD src0_sel:DWORD src1_sel:WORD_1
	v_cvt_f32_f16_e32 v6, v4
	v_fma_f16 v5, v10, v9, v5
	v_cvt_f32_f16_e32 v7, v5
	v_cvt_f64_f32_e32 v[3:4], v3
	v_cvt_f64_f32_e32 v[5:6], v6
	v_cvt_f64_f32_e32 v[7:8], v7
	v_mul_f64 v[3:4], v[3:4], s[6:7]
	v_mul_f64 v[5:6], v[5:6], s[6:7]
	;; [unrolled: 1-line block ×3, first 2 shown]
	v_and_or_b32 v3, v4, s14, v3
	v_and_or_b32 v5, v6, s14, v5
	v_cmp_ne_u32_e32 vcc, 0, v3
	v_lshrrev_b32_e32 v12, 8, v4
	v_bfe_u32 v13, v4, 20, 11
	v_bfe_u32 v15, v6, 20, 11
	v_cndmask_b32_e64 v3, 0, 1, vcc
	v_cmp_ne_u32_e32 vcc, 0, v5
	v_and_or_b32 v7, v8, s14, v7
	v_lshrrev_b32_e32 v14, 8, v6
	v_sub_u32_e32 v16, 0x3f1, v13
	v_cndmask_b32_e64 v5, 0, 1, vcc
	v_sub_u32_e32 v17, 0x3f1, v15
	v_bfe_u32 v19, v8, 20, 11
	v_and_or_b32 v3, v12, s15, v3
	v_cmp_ne_u32_e32 vcc, 0, v7
	v_lshrrev_b32_e32 v18, 8, v8
	v_med3_i32 v12, v16, 0, 13
	v_and_or_b32 v5, v14, s15, v5
	v_med3_i32 v14, v17, 0, 13
	v_cndmask_b32_e64 v7, 0, 1, vcc
	v_sub_u32_e32 v16, 0x3f1, v19
	v_add_u32_e32 v17, 0xfffffc10, v19
	v_or_b32_e32 v19, 0x1000, v3
	v_add_u32_e32 v13, 0xfffffc10, v13
	v_cmp_ne_u32_e32 vcc, 0, v3
	v_or_b32_e32 v21, 0x1000, v5
	v_and_or_b32 v7, v18, s15, v7
	v_lshrrev_b32_e32 v18, v12, v19
	v_add_u32_e32 v15, 0xfffffc10, v15
	v_lshl_or_b32 v20, v13, 12, v3
	v_cndmask_b32_e64 v3, 0, 1, vcc
	v_cmp_ne_u32_e32 vcc, 0, v5
	v_med3_i32 v16, v16, 0, 13
	v_lshrrev_b32_e32 v23, v14, v21
	v_or_b32_e32 v24, 0x1000, v7
	v_lshlrev_b32_e32 v12, v12, v18
	v_lshl_or_b32 v22, v15, 12, v5
	v_cndmask_b32_e64 v5, 0, 1, vcc
	v_lshlrev_b32_e32 v14, v14, v23
	v_lshrrev_b32_e32 v25, v16, v24
	v_cmp_ne_u32_e32 vcc, v12, v19
	v_cndmask_b32_e64 v12, 0, 1, vcc
	v_cmp_ne_u32_e32 vcc, v14, v21
	v_lshlrev_b32_e32 v16, v16, v25
	v_cndmask_b32_e64 v14, 0, 1, vcc
	v_cmp_ne_u32_e32 vcc, v16, v24
	v_or_b32_e32 v12, v18, v12
	v_cndmask_b32_e64 v16, 0, 1, vcc
	v_cmp_gt_i32_e32 vcc, 1, v13
	v_cndmask_b32_e32 v12, v20, v12, vcc
	v_or_b32_e32 v14, v23, v14
	v_cmp_gt_i32_e32 vcc, 1, v15
	v_and_b32_e32 v18, 7, v12
	v_cndmask_b32_e32 v14, v22, v14, vcc
	v_cmp_lt_i32_e32 vcc, 5, v18
	v_cmp_eq_u32_e64 s[0:1], 3, v18
	v_lshrrev_b32_e32 v12, 2, v12
	v_and_b32_e32 v19, 7, v14
	s_or_b64 vcc, s[0:1], vcc
	v_cmp_lt_i32_e64 s[2:3], 5, v19
	v_cmp_eq_u32_e64 s[4:5], 3, v19
	v_addc_co_u32_e32 v12, vcc, 0, v12, vcc
	v_lshrrev_b32_e32 v14, 2, v14
	s_or_b64 vcc, s[4:5], s[2:3]
	v_addc_co_u32_e32 v14, vcc, 0, v14, vcc
	v_cmp_gt_i32_e32 vcc, 31, v13
	v_cndmask_b32_e32 v12, v2, v12, vcc
	v_cmp_gt_i32_e32 vcc, 31, v15
	v_lshl_or_b32 v3, v3, 9, v2
	v_cndmask_b32_e32 v14, v2, v14, vcc
	v_cmp_eq_u32_e32 vcc, s16, v13
	v_lshl_or_b32 v5, v5, 9, v2
	v_cndmask_b32_e32 v3, v12, v3, vcc
	v_cmp_eq_u32_e32 vcc, s16, v15
	v_lshrrev_b32_e32 v4, 16, v4
	v_lshrrev_b32_e32 v6, 16, v6
	v_cndmask_b32_e32 v5, v14, v5, vcc
	v_and_or_b32 v3, v4, s17, v3
	v_and_or_b32 v4, v6, s17, v5
	v_mul_f16_sdwa v5, v10, v9 dst_sel:DWORD dst_unused:UNUSED_PAD src0_sel:DWORD src1_sel:WORD_1
	v_and_b32_e32 v3, 0xffff, v3
	v_fma_f16 v5, v9, v11, -v5
	v_lshl_or_b32 v3, v4, 16, v3
	v_cvt_f32_f16_e32 v5, v5
	v_or_b32_e32 v16, v25, v16
	global_store_dword v[0:1], v3, off
	v_lshl_or_b32 v3, v17, 12, v7
	v_cmp_gt_i32_e32 vcc, 1, v17
	v_cndmask_b32_e32 v3, v3, v16, vcc
	v_and_b32_e32 v4, 7, v3
	v_cmp_lt_i32_e32 vcc, 5, v4
	v_cmp_eq_u32_e64 s[0:1], 3, v4
	v_lshrrev_b32_e32 v6, 2, v3
	v_cvt_f64_f32_e32 v[3:4], v5
	s_or_b64 vcc, s[0:1], vcc
	v_addc_co_u32_e32 v5, vcc, 0, v6, vcc
	v_mul_f64 v[3:4], v[3:4], s[6:7]
	v_cmp_gt_i32_e32 vcc, 31, v17
	v_cndmask_b32_e32 v5, v2, v5, vcc
	v_cmp_ne_u32_e32 vcc, 0, v7
	v_cndmask_b32_e64 v6, 0, 1, vcc
	v_lshl_or_b32 v6, v6, 9, v2
	v_cmp_eq_u32_e32 vcc, s16, v17
	v_cndmask_b32_e32 v5, v5, v6, vcc
	v_and_or_b32 v3, v4, s14, v3
	v_lshrrev_b32_e32 v6, 16, v8
	v_cmp_ne_u32_e32 vcc, 0, v3
	v_and_or_b32 v5, v6, s17, v5
	v_cndmask_b32_e64 v3, 0, 1, vcc
	v_lshrrev_b32_e32 v6, 8, v4
	v_bfe_u32 v7, v4, 20, 11
	v_and_or_b32 v3, v6, s15, v3
	v_sub_u32_e32 v8, 0x3f1, v7
	v_or_b32_e32 v6, 0x1000, v3
	v_med3_i32 v8, v8, 0, 13
	v_lshrrev_b32_e32 v9, v8, v6
	v_lshlrev_b32_e32 v8, v8, v9
	v_cmp_ne_u32_e32 vcc, v8, v6
	v_cndmask_b32_e64 v6, 0, 1, vcc
	v_add_u32_e32 v7, 0xfffffc10, v7
	v_or_b32_e32 v6, v9, v6
	v_lshl_or_b32 v8, v7, 12, v3
	v_cmp_gt_i32_e32 vcc, 1, v7
	v_cndmask_b32_e32 v6, v8, v6, vcc
	v_and_b32_e32 v8, 7, v6
	v_cmp_lt_i32_e32 vcc, 5, v8
	v_cmp_eq_u32_e64 s[0:1], 3, v8
	v_lshrrev_b32_e32 v6, 2, v6
	s_or_b64 vcc, s[0:1], vcc
	v_addc_co_u32_e32 v6, vcc, 0, v6, vcc
	v_cmp_gt_i32_e32 vcc, 31, v7
	v_cndmask_b32_e32 v6, v2, v6, vcc
	v_cmp_ne_u32_e32 vcc, 0, v3
	v_cndmask_b32_e64 v3, 0, 1, vcc
	v_lshl_or_b32 v2, v3, 9, v2
	v_cmp_eq_u32_e32 vcc, s16, v7
	v_cndmask_b32_e32 v2, v6, v2, vcc
	v_lshrrev_b32_e32 v3, 16, v4
	v_and_or_b32 v2, v3, s17, v2
	v_and_b32_e32 v3, 0xffff, v5
	v_lshl_or_b32 v2, v2, 16, v3
	v_mov_b32_e32 v3, s11
	v_add_co_u32_e32 v0, vcc, s10, v0
	v_addc_co_u32_e32 v1, vcc, v1, v3, vcc
	global_store_dword v[0:1], v2, off
.LBB0_47:
	s_endpgm
	.section	.rodata,"a",@progbits
	.p2align	6, 0x0
	.amdhsa_kernel bluestein_single_fwd_len1232_dim1_half_op_CI_CI
		.amdhsa_group_segment_fixed_size 4928
		.amdhsa_private_segment_fixed_size 0
		.amdhsa_kernarg_size 104
		.amdhsa_user_sgpr_count 6
		.amdhsa_user_sgpr_private_segment_buffer 1
		.amdhsa_user_sgpr_dispatch_ptr 0
		.amdhsa_user_sgpr_queue_ptr 0
		.amdhsa_user_sgpr_kernarg_segment_ptr 1
		.amdhsa_user_sgpr_dispatch_id 0
		.amdhsa_user_sgpr_flat_scratch_init 0
		.amdhsa_user_sgpr_private_segment_size 0
		.amdhsa_uses_dynamic_stack 0
		.amdhsa_system_sgpr_private_segment_wavefront_offset 0
		.amdhsa_system_sgpr_workgroup_id_x 1
		.amdhsa_system_sgpr_workgroup_id_y 0
		.amdhsa_system_sgpr_workgroup_id_z 0
		.amdhsa_system_sgpr_workgroup_info 0
		.amdhsa_system_vgpr_workitem_id 0
		.amdhsa_next_free_vgpr 176
		.amdhsa_next_free_sgpr 31
		.amdhsa_reserve_vcc 1
		.amdhsa_reserve_flat_scratch 0
		.amdhsa_float_round_mode_32 0
		.amdhsa_float_round_mode_16_64 0
		.amdhsa_float_denorm_mode_32 3
		.amdhsa_float_denorm_mode_16_64 3
		.amdhsa_dx10_clamp 1
		.amdhsa_ieee_mode 1
		.amdhsa_fp16_overflow 0
		.amdhsa_exception_fp_ieee_invalid_op 0
		.amdhsa_exception_fp_denorm_src 0
		.amdhsa_exception_fp_ieee_div_zero 0
		.amdhsa_exception_fp_ieee_overflow 0
		.amdhsa_exception_fp_ieee_underflow 0
		.amdhsa_exception_fp_ieee_inexact 0
		.amdhsa_exception_int_div_zero 0
	.end_amdhsa_kernel
	.text
.Lfunc_end0:
	.size	bluestein_single_fwd_len1232_dim1_half_op_CI_CI, .Lfunc_end0-bluestein_single_fwd_len1232_dim1_half_op_CI_CI
                                        ; -- End function
	.section	.AMDGPU.csdata,"",@progbits
; Kernel info:
; codeLenInByte = 16336
; NumSgprs: 35
; NumVgprs: 176
; ScratchSize: 0
; MemoryBound: 0
; FloatMode: 240
; IeeeMode: 1
; LDSByteSize: 4928 bytes/workgroup (compile time only)
; SGPRBlocks: 4
; VGPRBlocks: 43
; NumSGPRsForWavesPerEU: 35
; NumVGPRsForWavesPerEU: 176
; Occupancy: 1
; WaveLimiterHint : 1
; COMPUTE_PGM_RSRC2:SCRATCH_EN: 0
; COMPUTE_PGM_RSRC2:USER_SGPR: 6
; COMPUTE_PGM_RSRC2:TRAP_HANDLER: 0
; COMPUTE_PGM_RSRC2:TGID_X_EN: 1
; COMPUTE_PGM_RSRC2:TGID_Y_EN: 0
; COMPUTE_PGM_RSRC2:TGID_Z_EN: 0
; COMPUTE_PGM_RSRC2:TIDIG_COMP_CNT: 0
	.type	__hip_cuid_e43e59a85b107076,@object ; @__hip_cuid_e43e59a85b107076
	.section	.bss,"aw",@nobits
	.globl	__hip_cuid_e43e59a85b107076
__hip_cuid_e43e59a85b107076:
	.byte	0                               ; 0x0
	.size	__hip_cuid_e43e59a85b107076, 1

	.ident	"AMD clang version 19.0.0git (https://github.com/RadeonOpenCompute/llvm-project roc-6.4.0 25133 c7fe45cf4b819c5991fe208aaa96edf142730f1d)"
	.section	".note.GNU-stack","",@progbits
	.addrsig
	.addrsig_sym __hip_cuid_e43e59a85b107076
	.amdgpu_metadata
---
amdhsa.kernels:
  - .args:
      - .actual_access:  read_only
        .address_space:  global
        .offset:         0
        .size:           8
        .value_kind:     global_buffer
      - .actual_access:  read_only
        .address_space:  global
        .offset:         8
        .size:           8
        .value_kind:     global_buffer
      - .actual_access:  read_only
        .address_space:  global
        .offset:         16
        .size:           8
        .value_kind:     global_buffer
      - .actual_access:  read_only
        .address_space:  global
        .offset:         24
        .size:           8
        .value_kind:     global_buffer
      - .actual_access:  read_only
        .address_space:  global
        .offset:         32
        .size:           8
        .value_kind:     global_buffer
      - .offset:         40
        .size:           8
        .value_kind:     by_value
      - .address_space:  global
        .offset:         48
        .size:           8
        .value_kind:     global_buffer
      - .address_space:  global
        .offset:         56
        .size:           8
        .value_kind:     global_buffer
      - .address_space:  global
        .offset:         64
        .size:           8
        .value_kind:     global_buffer
      - .address_space:  global
        .offset:         72
        .size:           8
        .value_kind:     global_buffer
      - .offset:         80
        .size:           4
        .value_kind:     by_value
      - .address_space:  global
        .offset:         88
        .size:           8
        .value_kind:     global_buffer
      - .address_space:  global
        .offset:         96
        .size:           8
        .value_kind:     global_buffer
    .group_segment_fixed_size: 4928
    .kernarg_segment_align: 8
    .kernarg_segment_size: 104
    .language:       OpenCL C
    .language_version:
      - 2
      - 0
    .max_flat_workgroup_size: 176
    .name:           bluestein_single_fwd_len1232_dim1_half_op_CI_CI
    .private_segment_fixed_size: 0
    .sgpr_count:     35
    .sgpr_spill_count: 0
    .symbol:         bluestein_single_fwd_len1232_dim1_half_op_CI_CI.kd
    .uniform_work_group_size: 1
    .uses_dynamic_stack: false
    .vgpr_count:     176
    .vgpr_spill_count: 0
    .wavefront_size: 64
amdhsa.target:   amdgcn-amd-amdhsa--gfx906
amdhsa.version:
  - 1
  - 2
...

	.end_amdgpu_metadata
